;; amdgpu-corpus repo=ROCm/rocFFT kind=compiled arch=gfx1201 opt=O3
	.text
	.amdgcn_target "amdgcn-amd-amdhsa--gfx1201"
	.amdhsa_code_object_version 6
	.protected	bluestein_single_back_len3200_dim1_dp_op_CI_CI ; -- Begin function bluestein_single_back_len3200_dim1_dp_op_CI_CI
	.globl	bluestein_single_back_len3200_dim1_dp_op_CI_CI
	.p2align	8
	.type	bluestein_single_back_len3200_dim1_dp_op_CI_CI,@function
bluestein_single_back_len3200_dim1_dp_op_CI_CI: ; @bluestein_single_back_len3200_dim1_dp_op_CI_CI
; %bb.0:
	s_load_b128 s[16:19], s[0:1], 0x28
	v_mul_u32_u24_e32 v1, 0x19a, v0
	s_mov_b32 s2, exec_lo
	v_mov_b32_e32 v3, 0
	s_delay_alu instid0(VALU_DEP_2) | instskip(NEXT) | instid1(VALU_DEP_1)
	v_lshrrev_b32_e32 v1, 16, v1
	v_add_nc_u32_e32 v2, ttmp9, v1
	s_wait_kmcnt 0x0
	s_delay_alu instid0(VALU_DEP_1)
	v_cmpx_gt_u64_e64 s[16:17], v[2:3]
	s_cbranch_execz .LBB0_2
; %bb.1:
	s_clause 0x1
	s_load_b128 s[4:7], s[0:1], 0x18
	s_load_b128 s[8:11], s[0:1], 0x0
	v_mul_lo_u16 v1, 0xa0, v1
	v_mov_b32_e32 v6, v2
	s_mov_b32 s16, 0x134454ff
	s_mov_b32 s17, 0x3fee6f0e
	;; [unrolled: 1-line block ×3, first 2 shown]
	v_sub_nc_u16 v1, v0, v1
	s_mov_b32 s25, 0x3fe9e377
	s_mov_b32 s21, 0xbfd3c6ef
	;; [unrolled: 1-line block ×4, first 2 shown]
	v_and_b32_e32 v192, 0xffff, v1
	s_load_b64 s[0:1], s[0:1], 0x38
	s_wait_kmcnt 0x0
	s_load_b128 s[12:15], s[4:5], 0x0
	s_wait_kmcnt 0x0
	v_mad_co_u64_u32 v[2:3], null, s14, v6, 0
	v_mad_co_u64_u32 v[4:5], null, s12, v192, 0
	s_mul_i32 s4, s13, 0x2800
	s_delay_alu instid0(VALU_DEP_1) | instskip(SKIP_1) | instid1(VALU_DEP_1)
	v_dual_mov_b32 v0, v3 :: v_dual_mov_b32 v3, v5
	v_or_b32_e32 v10, 0x500, v192
	v_mad_co_u64_u32 v[8:9], null, s12, v10, 0
	v_mov_b32_e32 v16, v10
	scratch_store_b64 off, v[6:7], off      ; 8-byte Folded Spill
	v_mad_co_u64_u32 v[5:6], null, s15, v6, v[0:1]
	v_mad_co_u64_u32 v[6:7], null, s13, v192, v[3:4]
	v_or_b32_e32 v0, 0xa00, v192
	v_lshlrev_b32_e32 v78, 4, v192
	s_mov_b32 s14, 0x372fe950
	s_mov_b32 s15, 0x3fd3c6ef
	s_delay_alu instid0(VALU_DEP_4) | instskip(SKIP_3) | instid1(VALU_DEP_4)
	v_mov_b32_e32 v3, v5
	v_mov_b32_e32 v11, v0
	;; [unrolled: 1-line block ×3, first 2 shown]
	v_mad_co_u64_u32 v[6:7], null, s12, v0, 0
	v_lshlrev_b64_e32 v[2:3], 4, v[2:3]
	scratch_store_b32 off, v11, off offset:8 ; 4-byte Folded Spill
	v_lshlrev_b64_e32 v[4:5], 4, v[4:5]
	s_wait_alu 0xfffe
	s_mov_b32 s20, s14
	v_add_co_u32 v12, vcc_lo, s18, v2
	v_add_co_ci_u32_e32 v13, vcc_lo, s19, v3, vcc_lo
	v_mov_b32_e32 v0, v7
	s_delay_alu instid0(VALU_DEP_3) | instskip(SKIP_1) | instid1(VALU_DEP_3)
	v_add_co_u32 v14, vcc_lo, v12, v4
	s_wait_alu 0xfffd
	v_add_co_ci_u32_e32 v15, vcc_lo, v13, v5, vcc_lo
	v_mov_b32_e32 v7, v9
	scratch_store_b32 off, v16, off offset:12 ; 4-byte Folded Spill
	global_load_b128 v[28:31], v78, s[8:9]
	global_load_b128 v[2:5], v[14:15], off
	v_mad_co_u64_u32 v[9:10], null, s13, v11, v[0:1]
	v_mad_co_u64_u32 v[10:11], null, s13, v16, v[7:8]
	v_mul_lo_u16 v0, v1, 10
	s_mov_b32 s19, 0xbfee6f0e
	s_mov_b32 s18, s16
	s_delay_alu instid0(VALU_DEP_1) | instskip(NEXT) | instid1(VALU_DEP_3)
	v_dual_mov_b32 v7, v9 :: v_dual_and_b32 v0, 0xffff, v0
	v_mov_b32_e32 v9, v10
	s_delay_alu instid0(VALU_DEP_2) | instskip(NEXT) | instid1(VALU_DEP_1)
	v_lshlrev_b64_e32 v[6:7], 4, v[6:7]
	v_add_co_u32 v6, vcc_lo, v12, v6
	s_wait_alu 0xfffd
	s_delay_alu instid0(VALU_DEP_2)
	v_add_co_ci_u32_e32 v7, vcc_lo, v13, v7, vcc_lo
	s_wait_loadcnt 0x1
	v_dual_mov_b32 v55, v31 :: v_dual_mov_b32 v52, v28
	v_mov_b32_e32 v54, v30
	v_lshlrev_b64_e32 v[8:9], 4, v[8:9]
	s_wait_loadcnt 0x0
	v_mul_f64_e32 v[24:25], v[4:5], v[30:31]
	v_mul_f64_e32 v[26:27], v[2:3], v[30:31]
	s_delay_alu instid0(VALU_DEP_3) | instskip(NEXT) | instid1(VALU_DEP_1)
	v_add_co_u32 v10, s2, v12, v8
	v_add_co_ci_u32_e64 v11, vcc_lo, v13, v9, s2
	global_load_b128 v[32:35], v78, s[8:9] offset:40960
	global_load_b128 v[6:9], v[6:7], off
	global_load_b128 v[36:39], v78, s[8:9] offset:20480
	global_load_b128 v[10:13], v[10:11], off
	s_mul_u64 s[2:3], s[12:13], 0x1400
	global_load_b128 v[44:47], v78, s[8:9] offset:5120
	s_wait_alu 0xfffe
	v_add_co_u32 v14, vcc_lo, v14, s2
	s_wait_alu 0xfffd
	v_add_co_ci_u32_e32 v15, vcc_lo, s3, v15, vcc_lo
	v_mov_b32_e32 v53, v29
	s_delay_alu instid0(VALU_DEP_3) | instskip(SKIP_1) | instid1(VALU_DEP_3)
	v_add_co_u32 v22, vcc_lo, v14, s2
	s_wait_alu 0xfffd
	v_add_co_ci_u32_e32 v23, vcc_lo, s3, v15, vcc_lo
	global_load_b128 v[14:17], v[14:15], off
	global_load_b128 v[40:43], v78, s[8:9] offset:10240
	global_load_b128 v[18:21], v[22:23], off
	s_clause 0x6
	global_load_b128 v[56:59], v78, s[8:9] offset:7680
	global_load_b128 v[60:63], v78, s[8:9] offset:12800
	;; [unrolled: 1-line block ×7, first 2 shown]
	s_wait_loadcnt 0xe
	v_dual_mov_b32 v51, v35 :: v_dual_mov_b32 v48, v32
	v_mov_b32_e32 v50, v34
	v_fma_f64 v[2:3], v[2:3], v[52:53], v[24:25]
	s_wait_loadcnt 0xb
	v_mul_f64_e32 v[24:25], v[10:11], v[38:39]
	v_mov_b32_e32 v49, v33
	v_mul_f64_e32 v[32:33], v[12:13], v[38:39]
	scratch_store_b128 off, v[52:55], off offset:144 ; 16-byte Folded Spill
	v_fma_f64 v[4:5], v[4:5], v[52:53], -v[26:27]
	v_dual_mov_b32 v55, v39 :: v_dual_mov_b32 v52, v36
	v_mov_b32_e32 v53, v37
	v_mul_f64_e32 v[30:31], v[6:7], v[34:35]
	v_mul_f64_e32 v[28:29], v[8:9], v[34:35]
	v_mov_b32_e32 v54, v38
	global_load_b128 v[34:37], v78, s[8:9] offset:15360
	s_wait_loadcnt 0xa
	v_mul_f64_e32 v[26:27], v[16:17], v[46:47]
	s_wait_loadcnt 0x9
	s_clause 0x3
	scratch_store_b128 off, v[40:43], off offset:208
	scratch_store_b128 off, v[44:47], off offset:256
	;; [unrolled: 1-line block ×4, first 2 shown]
	s_wait_loadcnt 0x6
	scratch_store_b128 off, v[60:63], off offset:160 ; 16-byte Folded Spill
	s_wait_loadcnt 0x4
	scratch_store_b128 off, v[68:71], off offset:224 ; 16-byte Folded Spill
	;; [unrolled: 2-line block ×4, first 2 shown]
	s_wait_loadcnt 0x1
	s_clause 0x2
	scratch_store_b128 off, v[86:89], off offset:304
	scratch_store_b128 off, v[64:67], off offset:192
	;; [unrolled: 1-line block ×3, first 2 shown]
	v_fma_f64 v[12:13], v[12:13], v[52:53], -v[24:25]
	v_mul_f64_e32 v[24:25], v[18:19], v[42:43]
	v_fma_f64 v[10:11], v[10:11], v[52:53], v[32:33]
	v_add_co_u32 v32, vcc_lo, v22, s2
	s_wait_alu 0xfffd
	v_add_co_ci_u32_e32 v33, vcc_lo, s3, v23, vcc_lo
	global_load_b128 v[52:55], v78, s[8:9] offset:2560
	v_fma_f64 v[8:9], v[8:9], v[48:49], -v[30:31]
	v_mul_f64_e32 v[30:31], v[20:21], v[42:43]
	v_fma_f64 v[6:7], v[6:7], v[48:49], v[28:29]
	v_mul_f64_e32 v[28:29], v[14:15], v[46:47]
	v_fma_f64 v[14:15], v[14:15], v[44:45], v[26:27]
	global_load_b128 v[48:51], v78, s[8:9] offset:46080
	v_fma_f64 v[20:21], v[20:21], v[40:41], -v[24:25]
	global_load_b128 v[22:25], v[32:33], off
	v_fma_f64 v[18:19], v[18:19], v[40:41], v[30:31]
	v_mad_co_u64_u32 v[30:31], null, 0x2800, s12, v[32:33]
	v_fma_f64 v[16:17], v[16:17], v[44:45], -v[28:29]
	s_clause 0x1
	global_load_b128 v[40:43], v78, s[8:9] offset:30720
	global_load_b128 v[44:47], v78, s[8:9] offset:35840
	v_add_nc_u32_e32 v31, s4, v31
	s_wait_loadcnt 0x5
	scratch_store_b128 off, v[34:37], off offset:176 ; 16-byte Folded Spill
	s_wait_loadcnt 0x4
	scratch_store_b128 off, v[52:55], off offset:112 ; 16-byte Folded Spill
	;; [unrolled: 2-line block ×3, first 2 shown]
	s_wait_loadcnt 0x2
	v_mul_f64_e32 v[26:27], v[24:25], v[36:37]
	v_mul_f64_e32 v[28:29], v[22:23], v[36:37]
	global_load_b128 v[36:39], v78, s[8:9] offset:25600
	s_wait_loadcnt 0x2
	scratch_store_b128 off, v[40:43], off offset:64 ; 16-byte Folded Spill
	s_wait_loadcnt 0x1
	scratch_store_b128 off, v[44:47], off offset:96 ; 16-byte Folded Spill
	v_fma_f64 v[22:23], v[22:23], v[34:35], v[26:27]
	v_fma_f64 v[24:25], v[24:25], v[34:35], -v[28:29]
	global_load_b128 v[26:29], v[30:31], off
	s_wait_loadcnt 0x1
	scratch_store_b128 off, v[36:39], off offset:48 ; 16-byte Folded Spill
	s_wait_loadcnt 0x0
	v_mul_f64_e32 v[34:35], v[26:27], v[38:39]
	v_mul_f64_e32 v[32:33], v[28:29], v[38:39]
	s_delay_alu instid0(VALU_DEP_2) | instskip(SKIP_3) | instid1(VALU_DEP_4)
	v_fma_f64 v[28:29], v[28:29], v[36:37], -v[34:35]
	v_add_co_u32 v34, vcc_lo, v30, s2
	s_wait_alu 0xfffd
	v_add_co_ci_u32_e32 v35, vcc_lo, s3, v31, vcc_lo
	v_fma_f64 v[26:27], v[26:27], v[36:37], v[32:33]
	global_load_b128 v[30:33], v[34:35], off
	s_wait_loadcnt 0x0
	v_mul_f64_e32 v[38:39], v[30:31], v[42:43]
	v_mul_f64_e32 v[36:37], v[32:33], v[42:43]
	s_delay_alu instid0(VALU_DEP_2) | instskip(SKIP_3) | instid1(VALU_DEP_4)
	v_fma_f64 v[32:33], v[32:33], v[40:41], -v[38:39]
	v_add_co_u32 v38, vcc_lo, v34, s2
	s_wait_alu 0xfffd
	v_add_co_ci_u32_e32 v39, vcc_lo, s3, v35, vcc_lo
	v_fma_f64 v[30:31], v[30:31], v[40:41], v[36:37]
	global_load_b128 v[34:37], v[38:39], off
	s_wait_loadcnt 0x0
	v_mul_f64_e32 v[42:43], v[34:35], v[46:47]
	v_mul_f64_e32 v[40:41], v[36:37], v[46:47]
	s_delay_alu instid0(VALU_DEP_2) | instskip(SKIP_1) | instid1(VALU_DEP_3)
	v_fma_f64 v[36:37], v[36:37], v[44:45], -v[42:43]
	v_mad_co_u64_u32 v[42:43], null, 0x2800, s12, v[38:39]
	v_fma_f64 v[34:35], v[34:35], v[44:45], v[40:41]
	s_delay_alu instid0(VALU_DEP_2)
	v_add_nc_u32_e32 v43, s4, v43
	s_mul_i32 s4, s13, 0xffff5600
	s_mov_b32 s13, 0xbfe2cf23
	s_wait_alu 0xfffe
	s_sub_co_i32 s4, s4, s12
	global_load_b128 v[38:41], v[42:43], off
	s_wait_loadcnt 0x0
	v_mul_f64_e32 v[46:47], v[38:39], v[50:51]
	v_mul_f64_e32 v[44:45], v[40:41], v[50:51]
	s_delay_alu instid0(VALU_DEP_2) | instskip(SKIP_1) | instid1(VALU_DEP_3)
	v_fma_f64 v[40:41], v[40:41], v[48:49], -v[46:47]
	v_mad_co_u64_u32 v[46:47], null, 0xffff5600, s12, v[42:43]
	v_fma_f64 v[38:39], v[38:39], v[48:49], v[44:45]
	s_wait_alu 0xfffe
	s_delay_alu instid0(VALU_DEP_2) | instskip(SKIP_4) | instid1(VALU_DEP_2)
	v_add_nc_u32_e32 v47, s4, v47
	global_load_b128 v[42:45], v[46:47], off
	s_wait_loadcnt 0x0
	v_mul_f64_e32 v[50:51], v[42:43], v[54:55]
	v_mul_f64_e32 v[48:49], v[44:45], v[54:55]
	v_fma_f64 v[44:45], v[44:45], v[52:53], -v[50:51]
	v_add_co_u32 v50, vcc_lo, v46, s2
	s_wait_alu 0xfffd
	v_add_co_ci_u32_e32 v51, vcc_lo, s3, v47, vcc_lo
	s_delay_alu instid0(VALU_DEP_4) | instskip(SKIP_4) | instid1(VALU_DEP_2)
	v_fma_f64 v[42:43], v[42:43], v[52:53], v[48:49]
	global_load_b128 v[46:49], v[50:51], off
	s_wait_loadcnt 0x0
	v_mul_f64_e32 v[54:55], v[46:47], v[58:59]
	v_mul_f64_e32 v[52:53], v[48:49], v[58:59]
	v_fma_f64 v[48:49], v[48:49], v[56:57], -v[54:55]
	v_add_co_u32 v54, vcc_lo, v50, s2
	s_wait_alu 0xfffd
	v_add_co_ci_u32_e32 v55, vcc_lo, s3, v51, vcc_lo
	s_delay_alu instid0(VALU_DEP_4) | instskip(SKIP_4) | instid1(VALU_DEP_2)
	v_fma_f64 v[46:47], v[46:47], v[56:57], v[52:53]
	;; [unrolled: 10-line block ×5, first 2 shown]
	global_load_b128 v[62:65], v[66:67], off
	s_wait_loadcnt 0x0
	v_mul_f64_e32 v[70:71], v[62:63], v[74:75]
	v_mul_f64_e32 v[68:69], v[64:65], v[74:75]
	v_fma_f64 v[64:65], v[64:65], v[72:73], -v[70:71]
	v_add_co_u32 v70, vcc_lo, v66, s2
	s_wait_alu 0xfffd
	v_add_co_ci_u32_e32 v71, vcc_lo, s3, v67, vcc_lo
	s_delay_alu instid0(VALU_DEP_4)
	v_fma_f64 v[62:63], v[62:63], v[72:73], v[68:69]
	global_load_b128 v[66:69], v[70:71], off
	s_wait_loadcnt 0x0
	v_mul_f64_e32 v[74:75], v[66:67], v[81:82]
	v_mul_f64_e32 v[72:73], v[68:69], v[81:82]
	global_load_b128 v[81:84], v78, s[8:9] offset:38400
	v_fma_f64 v[68:69], v[68:69], v[79:80], -v[74:75]
	v_add_co_u32 v74, vcc_lo, v70, s2
	s_wait_alu 0xfffd
	v_add_co_ci_u32_e32 v75, vcc_lo, s3, v71, vcc_lo
	v_fma_f64 v[66:67], v[66:67], v[79:80], v[72:73]
	global_load_b128 v[70:73], v[74:75], off
	s_wait_loadcnt 0x1
	scratch_store_b128 off, v[81:84], off offset:288 ; 16-byte Folded Spill
	s_wait_loadcnt 0x0
	v_mul_f64_e32 v[76:77], v[72:73], v[83:84]
	v_mul_f64_e32 v[79:80], v[70:71], v[83:84]
	v_add_co_u32 v84, vcc_lo, v74, s2
	s_wait_alu 0xfffd
	v_add_co_ci_u32_e32 v85, vcc_lo, s3, v75, vcc_lo
	s_delay_alu instid0(VALU_DEP_4)
	v_fma_f64 v[70:71], v[70:71], v[81:82], v[76:77]
	global_load_b128 v[74:77], v[84:85], off
	v_fma_f64 v[72:73], v[72:73], v[81:82], -v[79:80]
	s_wait_loadcnt 0x0
	v_mul_f64_e32 v[79:80], v[76:77], v[88:89]
	v_mul_f64_e32 v[82:83], v[74:75], v[88:89]
	s_delay_alu instid0(VALU_DEP_2) | instskip(SKIP_3) | instid1(VALU_DEP_4)
	v_fma_f64 v[80:81], v[74:75], v[86:87], v[79:80]
	v_add_co_u32 v74, vcc_lo, v84, s2
	s_wait_alu 0xfffd
	v_add_co_ci_u32_e32 v75, vcc_lo, s3, v85, vcc_lo
	v_fma_f64 v[82:83], v[76:77], v[86:87], -v[82:83]
	global_load_b128 v[84:87], v[74:75], off
	global_load_b128 v[88:91], v78, s[8:9] offset:48640
	s_mov_b32 s2, 0x4755a5e
	s_mov_b32 s3, 0x3fe2cf23
	s_wait_alu 0xfffe
	s_mov_b32 s12, s2
	v_cmp_gt_u16_e32 vcc_lo, 0x64, v1
	s_wait_loadcnt 0x0
	v_mul_f64_e32 v[74:75], v[86:87], v[90:91]
	v_mul_f64_e32 v[76:77], v[84:85], v[90:91]
	scratch_store_b128 off, v[88:91], off offset:320 ; 16-byte Folded Spill
	v_fma_f64 v[84:85], v[84:85], v[88:89], v[74:75]
	v_fma_f64 v[86:87], v[86:87], v[88:89], -v[76:77]
	ds_store_b128 v78, v[10:13] offset:20480
	ds_store_b128 v78, v[6:9] offset:40960
	ds_store_b128 v78, v[2:5]
	ds_store_b128 v78, v[14:17] offset:5120
	ds_store_b128 v78, v[18:21] offset:10240
	;; [unrolled: 1-line block ×17, first 2 shown]
	s_load_b128 s[4:7], s[6:7], 0x0
	global_wb scope:SCOPE_SE
	s_wait_storecnt_dscnt 0x0
	s_wait_kmcnt 0x0
	s_barrier_signal -1
	s_barrier_wait -1
	global_inv scope:SCOPE_SE
	ds_load_b128 v[40:43], v78
	ds_load_b128 v[44:47], v78 offset:10240
	ds_load_b128 v[2:5], v78 offset:20480
	;; [unrolled: 1-line block ×3, first 2 shown]
	s_wait_dscnt 0x2
	v_add_f64_e32 v[6:7], v[40:41], v[44:45]
	s_wait_dscnt 0x1
	v_add_f64_e64 v[24:25], v[44:45], -v[2:3]
	s_wait_dscnt 0x0
	v_add_f64_e32 v[28:29], v[2:3], v[8:9]
	v_add_f64_e64 v[20:21], v[2:3], -v[44:45]
	v_add_f64_e64 v[14:15], v[2:3], -v[8:9]
	;; [unrolled: 1-line block ×3, first 2 shown]
	v_add_f64_e32 v[30:31], v[4:5], v[10:11]
	v_add_f64_e64 v[26:27], v[46:47], -v[4:5]
	v_add_f64_e64 v[22:23], v[4:5], -v[46:47]
	v_add_f64_e32 v[38:39], v[6:7], v[2:3]
	v_add_f64_e32 v[6:7], v[42:43], v[46:47]
	s_delay_alu instid0(VALU_DEP_2) | instskip(NEXT) | instid1(VALU_DEP_2)
	v_add_f64_e32 v[2:3], v[38:39], v[8:9]
	v_add_f64_e32 v[36:37], v[6:7], v[4:5]
	ds_load_b128 v[4:7], v78 offset:40960
	s_wait_dscnt 0x0
	v_add_f64_e64 v[16:17], v[46:47], -v[6:7]
	v_add_f64_e32 v[32:33], v[44:45], v[4:5]
	v_add_f64_e64 v[18:19], v[44:45], -v[4:5]
	v_add_f64_e32 v[34:35], v[46:47], v[6:7]
	v_add_f64_e64 v[56:57], v[4:5], -v[8:9]
	v_add_f64_e64 v[58:59], v[8:9], -v[4:5]
	v_add_f64_e64 v[60:61], v[6:7], -v[10:11]
	v_add_f64_e32 v[62:63], v[2:3], v[4:5]
	v_add_f64_e32 v[36:37], v[36:37], v[10:11]
	v_add_f64_e64 v[10:11], v[10:11], -v[6:7]
	v_add_f64_e32 v[56:57], v[24:25], v[56:57]
	v_add_f64_e32 v[60:61], v[26:27], v[60:61]
	s_delay_alu instid0(VALU_DEP_4)
	v_add_f64_e32 v[64:65], v[36:37], v[6:7]
	ds_load_b128 v[2:5], v78 offset:5120
	ds_load_b128 v[6:9], v78 offset:15360
	;; [unrolled: 1-line block ×4, first 2 shown]
	v_add_f64_e32 v[10:11], v[22:23], v[10:11]
	s_wait_dscnt 0x2
	v_add_f64_e32 v[48:49], v[2:3], v[6:7]
	v_add_f64_e32 v[50:51], v[4:5], v[8:9]
	s_wait_dscnt 0x1
	v_add_f64_e64 v[66:67], v[8:9], -v[38:39]
	s_wait_dscnt 0x0
	v_add_f64_e64 v[68:69], v[6:7], -v[44:45]
	v_add_f64_e32 v[70:71], v[6:7], v[36:37]
	v_add_f64_e32 v[72:73], v[8:9], v[38:39]
	v_add_f64_e64 v[74:75], v[44:45], -v[6:7]
	v_add_f64_e64 v[76:77], v[6:7], -v[36:37]
	;; [unrolled: 1-line block ×4, first 2 shown]
	ds_load_b128 v[6:9], v78 offset:35840
	s_wait_dscnt 0x0
	v_add_f64_e32 v[83:84], v[44:45], v[6:7]
	v_add_f64_e64 v[85:86], v[46:47], -v[8:9]
	v_add_f64_e32 v[87:88], v[46:47], v[8:9]
	v_add_f64_e64 v[89:90], v[44:45], -v[6:7]
	v_add_f64_e64 v[91:92], v[36:37], -v[6:7]
	;; [unrolled: 1-line block ×5, first 2 shown]
	v_add_f64_e32 v[48:49], v[48:49], v[44:45]
	v_add_f64_e32 v[50:51], v[50:51], v[46:47]
	v_fma_f64 v[70:71], v[70:71], -0.5, v[2:3]
	v_fma_f64 v[72:73], v[72:73], -0.5, v[4:5]
	;; [unrolled: 1-line block ×4, first 2 shown]
	v_add_f64_e32 v[44:45], v[48:49], v[6:7]
	v_add_f64_e32 v[46:47], v[50:51], v[8:9]
	v_fma_f64 v[22:23], v[85:86], s[18:19], v[70:71]
	v_fma_f64 v[24:25], v[66:67], s[16:17], v[83:84]
	;; [unrolled: 1-line block ×3, first 2 shown]
	v_add_f64_e32 v[99:100], v[44:45], v[36:37]
	v_add_f64_e32 v[101:102], v[46:47], v[38:39]
	ds_load_b128 v[6:9], v78 offset:2560
	ds_load_b128 v[36:39], v78 offset:12800
	;; [unrolled: 1-line block ×4, first 2 shown]
	v_fma_f64 v[22:23], v[66:67], s[2:3], v[22:23]
	s_wait_dscnt 0x2
	v_add_f64_e32 v[52:53], v[6:7], v[36:37]
	v_add_f64_e32 v[54:55], v[8:9], v[38:39]
	s_wait_dscnt 0x1
	v_add_f64_e32 v[103:104], v[36:37], v[44:45]
	v_add_f64_e32 v[105:106], v[38:39], v[46:47]
	v_add_f64_e64 v[107:108], v[38:39], -v[46:47]
	s_wait_dscnt 0x0
	v_add_f64_e64 v[109:110], v[36:37], -v[48:49]
	v_add_f64_e64 v[111:112], v[48:49], -v[36:37]
	;; [unrolled: 1-line block ×5, first 2 shown]
	ds_load_b128 v[36:39], v78 offset:33280
	v_fma_f64 v[24:25], v[85:86], s[2:3], v[24:25]
	v_fma_f64 v[26:27], v[89:90], s[12:13], v[26:27]
	v_add_f64_e32 v[2:3], v[62:63], v[99:100]
	v_add_f64_e32 v[4:5], v[64:65], v[101:102]
	s_wait_dscnt 0x0
	v_add_f64_e32 v[119:120], v[48:49], v[36:37]
	v_add_f64_e32 v[121:122], v[50:51], v[38:39]
	v_add_f64_e64 v[123:124], v[50:51], -v[38:39]
	v_add_f64_e64 v[125:126], v[48:49], -v[36:37]
	;; [unrolled: 1-line block ×6, first 2 shown]
	v_add_f64_e32 v[52:53], v[52:53], v[48:49]
	v_add_f64_e32 v[54:55], v[54:55], v[50:51]
	v_fma_f64 v[103:104], v[103:104], -0.5, v[6:7]
	v_fma_f64 v[105:106], v[105:106], -0.5, v[8:9]
	;; [unrolled: 1-line block ×3, first 2 shown]
	v_add_f64_e64 v[6:7], v[62:63], -v[99:100]
	v_add_f64_e32 v[62:63], v[68:69], v[91:92]
	v_fma_f64 v[121:122], v[121:122], -0.5, v[8:9]
	v_add_f64_e64 v[8:9], v[64:65], -v[101:102]
	v_add_f64_e32 v[64:65], v[79:80], v[95:96]
	v_add_f64_e32 v[48:49], v[52:53], v[36:37]
	;; [unrolled: 1-line block ×3, first 2 shown]
	v_fma_f64 v[24:25], v[62:63], s[14:15], v[24:25]
	s_delay_alu instid0(VALU_DEP_4) | instskip(NEXT) | instid1(VALU_DEP_4)
	v_fma_f64 v[26:27], v[64:65], s[14:15], v[26:27]
	v_add_f64_e32 v[135:136], v[48:49], v[44:45]
	s_delay_alu instid0(VALU_DEP_4)
	v_add_f64_e32 v[137:138], v[50:51], v[46:47]
	ds_load_b128 v[36:39], v78 offset:7680
	ds_load_b128 v[44:47], v78 offset:17920
	;; [unrolled: 1-line block ×4, first 2 shown]
	s_wait_dscnt 0x2
	v_add_f64_e32 v[139:140], v[36:37], v[44:45]
	v_add_f64_e32 v[141:142], v[38:39], v[46:47]
	s_wait_dscnt 0x1
	v_add_f64_e64 v[143:144], v[46:47], -v[50:51]
	s_wait_dscnt 0x0
	v_add_f64_e64 v[145:146], v[44:45], -v[52:53]
	v_add_f64_e32 v[147:148], v[44:45], v[48:49]
	v_add_f64_e64 v[149:150], v[52:53], -v[44:45]
	v_add_f64_e32 v[151:152], v[46:47], v[50:51]
	v_add_f64_e64 v[153:154], v[44:45], -v[48:49]
	v_add_f64_e64 v[155:156], v[46:47], -v[54:55]
	;; [unrolled: 1-line block ×3, first 2 shown]
	ds_load_b128 v[44:47], v78 offset:38400
	global_wb scope:SCOPE_SE
	s_wait_dscnt 0x0
	s_barrier_signal -1
	s_barrier_wait -1
	global_inv scope:SCOPE_SE
	v_add_f64_e32 v[159:160], v[52:53], v[44:45]
	v_add_f64_e64 v[163:164], v[52:53], -v[44:45]
	v_add_f64_e32 v[161:162], v[54:55], v[46:47]
	v_add_f64_e64 v[165:166], v[54:55], -v[46:47]
	v_add_f64_e64 v[167:168], v[50:51], -v[46:47]
	;; [unrolled: 1-line block ×3, first 2 shown]
	v_add_f64_e32 v[139:140], v[139:140], v[52:53]
	v_add_f64_e32 v[141:142], v[141:142], v[54:55]
	v_fma_f64 v[147:148], v[147:148], -0.5, v[36:37]
	v_fma_f64 v[151:152], v[151:152], -0.5, v[38:39]
	;; [unrolled: 1-line block ×3, first 2 shown]
	v_mul_f64_e32 v[36:37], s[24:25], v[24:25]
	v_mul_f64_e32 v[24:25], s[12:13], v[24:25]
	v_fma_f64 v[161:162], v[161:162], -0.5, v[38:39]
	v_add_f64_e32 v[52:53], v[139:140], v[44:45]
	v_add_f64_e32 v[54:55], v[141:142], v[46:47]
	v_add_f64_e64 v[139:140], v[48:49], -v[44:45]
	v_add_f64_e64 v[141:142], v[44:45], -v[48:49]
	v_fma_f64 v[36:37], v[26:27], s[2:3], v[36:37]
	v_fma_f64 v[38:39], v[26:27], s[24:25], v[24:25]
	v_add_f64_e32 v[44:45], v[52:53], v[48:49]
	v_fma_f64 v[52:53], v[28:29], -0.5, v[40:41]
	v_fma_f64 v[48:49], v[32:33], -0.5, v[40:41]
	v_add_f64_e32 v[46:47], v[54:55], v[50:51]
	v_fma_f64 v[54:55], v[30:31], -0.5, v[42:43]
	v_fma_f64 v[50:51], v[34:35], -0.5, v[42:43]
	v_add_f64_e32 v[79:80], v[149:150], v[141:142]
	v_add_f64_e32 v[28:29], v[135:136], v[44:45]
	v_add_f64_e64 v[32:33], v[135:136], -v[44:45]
	v_fma_f64 v[24:25], v[16:17], s[16:17], v[52:53]
	v_add_f64_e32 v[44:45], v[20:21], v[58:59]
	v_fma_f64 v[20:21], v[89:90], s[16:17], v[72:73]
	v_add_f64_e32 v[58:59], v[81:82], v[97:98]
	v_add_f64_e32 v[30:31], v[137:138], v[46:47]
	v_add_f64_e64 v[34:35], v[137:138], -v[46:47]
	v_fma_f64 v[26:27], v[18:19], s[18:19], v[54:55]
	v_add_f64_e32 v[46:47], v[74:75], v[93:94]
	v_add_f64_e32 v[81:82], v[157:158], v[169:170]
	v_fma_f64 v[92:93], v[113:114], s[16:17], v[121:122]
	v_fma_f64 v[24:25], v[12:13], s[2:3], v[24:25]
	;; [unrolled: 1-line block ×9, first 2 shown]
	s_delay_alu instid0(VALU_DEP_3) | instskip(SKIP_1) | instid1(VALU_DEP_4)
	v_add_f64_e32 v[24:25], v[40:41], v[36:37]
	v_add_f64_e64 v[36:37], v[40:41], -v[36:37]
	v_mul_f64_e32 v[40:41], s[16:17], v[20:21]
	s_delay_alu instid0(VALU_DEP_4) | instskip(SKIP_1) | instid1(VALU_DEP_3)
	v_add_f64_e32 v[26:27], v[42:43], v[38:39]
	v_add_f64_e64 v[38:39], v[42:43], -v[38:39]
	v_fma_f64 v[40:41], v[22:23], s[14:15], v[40:41]
	v_mul_f64_e32 v[22:23], s[18:19], v[22:23]
	s_delay_alu instid0(VALU_DEP_1) | instskip(SKIP_3) | instid1(VALU_DEP_3)
	v_fma_f64 v[42:43], v[20:21], s[14:15], v[22:23]
	v_fma_f64 v[20:21], v[12:13], s[18:19], v[48:49]
	;; [unrolled: 1-line block ×5, first 2 shown]
	s_delay_alu instid0(VALU_DEP_3) | instskip(NEXT) | instid1(VALU_DEP_3)
	v_fma_f64 v[48:49], v[16:17], s[12:13], v[48:49]
	v_fma_f64 v[22:23], v[18:19], s[12:13], v[22:23]
	;; [unrolled: 1-line block ×3, first 2 shown]
	s_delay_alu instid0(VALU_DEP_4) | instskip(NEXT) | instid1(VALU_DEP_4)
	v_fma_f64 v[68:69], v[44:45], s[14:15], v[20:21]
	v_fma_f64 v[48:49], v[44:45], s[14:15], v[48:49]
	;; [unrolled: 1-line block ×5, first 2 shown]
	v_add_f64_e32 v[20:21], v[68:69], v[40:41]
	v_add_f64_e64 v[40:41], v[68:69], -v[40:41]
	v_fma_f64 v[68:69], v[85:86], s[16:17], v[70:71]
	v_fma_f64 v[44:45], v[18:19], s[2:3], v[44:45]
	;; [unrolled: 1-line block ×3, first 2 shown]
	v_add_f64_e32 v[22:23], v[74:75], v[42:43]
	v_add_f64_e64 v[42:43], v[74:75], -v[42:43]
	v_fma_f64 v[54:55], v[153:154], s[18:19], v[161:162]
	v_add_f64_e32 v[70:71], v[117:118], v[133:134]
	v_fma_f64 v[68:69], v[66:67], s[12:13], v[68:69]
	v_fma_f64 v[10:11], v[10:11], s[14:15], v[44:45]
	;; [unrolled: 1-line block ×7, first 2 shown]
	v_add_f64_e32 v[73:74], v[115:116], v[131:132]
	s_delay_alu instid0(VALU_DEP_3) | instskip(NEXT) | instid1(VALU_DEP_3)
	v_mul_f64_e32 v[44:45], s[20:21], v[46:47]
	v_fma_f64 v[68:69], v[76:77], s[2:3], v[68:69]
	s_delay_alu instid0(VALU_DEP_1) | instskip(SKIP_1) | instid1(VALU_DEP_2)
	v_fma_f64 v[58:59], v[58:59], s[14:15], v[68:69]
	v_add_f64_e32 v[68:69], v[111:112], v[129:130]
	v_fma_f64 v[50:51], v[58:59], s[16:17], v[44:45]
	v_mul_f64_e32 v[44:45], s[20:21], v[58:59]
	s_delay_alu instid0(VALU_DEP_1) | instskip(NEXT) | instid1(VALU_DEP_3)
	v_fma_f64 v[58:59], v[46:47], s[18:19], v[44:45]
	v_add_f64_e32 v[44:45], v[48:49], v[50:51]
	v_add_f64_e64 v[48:49], v[48:49], -v[50:51]
	s_delay_alu instid0(VALU_DEP_3) | instskip(SKIP_4) | instid1(VALU_DEP_3)
	v_add_f64_e32 v[46:47], v[10:11], v[58:59]
	v_add_f64_e64 v[50:51], v[10:11], -v[58:59]
	v_fma_f64 v[10:11], v[66:67], s[18:19], v[83:84]
	v_fma_f64 v[58:59], v[76:77], s[16:17], v[87:88]
	v_add_f64_e32 v[75:76], v[145:146], v[139:140]
	v_fma_f64 v[10:11], v[85:86], s[12:13], v[10:11]
	s_delay_alu instid0(VALU_DEP_3) | instskip(SKIP_1) | instid1(VALU_DEP_3)
	v_fma_f64 v[52:53], v[89:90], s[2:3], v[58:59]
	v_add_f64_e32 v[84:85], v[155:156], v[167:168]
	v_fma_f64 v[10:11], v[62:63], s[14:15], v[10:11]
	s_delay_alu instid0(VALU_DEP_3) | instskip(SKIP_1) | instid1(VALU_DEP_4)
	v_fma_f64 v[16:17], v[64:65], s[14:15], v[52:53]
	v_fma_f64 v[52:53], v[60:61], s[14:15], v[14:15]
	;; [unrolled: 1-line block ×3, first 2 shown]
	s_delay_alu instid0(VALU_DEP_4) | instskip(NEXT) | instid1(VALU_DEP_1)
	v_mul_f64_e32 v[12:13], s[22:23], v[10:11]
	v_fma_f64 v[14:15], v[16:17], s[2:3], v[12:13]
	v_mul_f64_e32 v[12:13], s[22:23], v[16:17]
	s_delay_alu instid0(VALU_DEP_1) | instskip(NEXT) | instid1(VALU_DEP_3)
	v_fma_f64 v[16:17], v[10:11], s[12:13], v[12:13]
	v_add_f64_e32 v[10:11], v[18:19], v[14:15]
	v_add_f64_e64 v[14:15], v[18:19], -v[14:15]
	v_add_f64_e32 v[18:19], v[109:110], v[127:128]
	s_delay_alu instid0(VALU_DEP_4) | instskip(SKIP_2) | instid1(VALU_DEP_1)
	v_add_f64_e32 v[12:13], v[52:53], v[16:17]
	v_add_f64_e64 v[16:17], v[52:53], -v[16:17]
	v_fma_f64 v[52:53], v[143:144], s[16:17], v[159:160]
	v_fma_f64 v[52:53], v[165:166], s[2:3], v[52:53]
	s_delay_alu instid0(VALU_DEP_1) | instskip(NEXT) | instid1(VALU_DEP_1)
	v_fma_f64 v[52:53], v[75:76], s[14:15], v[52:53]
	v_mul_f64_e32 v[56:57], s[24:25], v[52:53]
	v_mul_f64_e32 v[52:53], s[12:13], v[52:53]
	s_delay_alu instid0(VALU_DEP_2) | instskip(NEXT) | instid1(VALU_DEP_2)
	v_fma_f64 v[56:57], v[54:55], s[2:3], v[56:57]
	v_fma_f64 v[58:59], v[54:55], s[24:25], v[52:53]
	;; [unrolled: 1-line block ×4, first 2 shown]
	s_delay_alu instid0(VALU_DEP_2) | instskip(NEXT) | instid1(VALU_DEP_2)
	v_fma_f64 v[52:53], v[123:124], s[2:3], v[52:53]
	v_fma_f64 v[54:55], v[125:126], s[12:13], v[54:55]
	s_delay_alu instid0(VALU_DEP_2) | instskip(NEXT) | instid1(VALU_DEP_2)
	v_fma_f64 v[60:61], v[18:19], s[14:15], v[52:53]
	v_fma_f64 v[62:63], v[73:74], s[14:15], v[54:55]
	;; [unrolled: 1-line block ×3, first 2 shown]
	s_delay_alu instid0(VALU_DEP_3)
	v_add_f64_e32 v[52:53], v[60:61], v[56:57]
	v_add_f64_e64 v[56:57], v[60:61], -v[56:57]
	v_fma_f64 v[60:61], v[163:164], s[16:17], v[151:152]
	v_add_f64_e32 v[54:55], v[62:63], v[58:59]
	v_add_f64_e64 v[58:59], v[62:63], -v[58:59]
	v_fma_f64 v[62:63], v[165:166], s[18:19], v[147:148]
	s_delay_alu instid0(VALU_DEP_4) | instskip(NEXT) | instid1(VALU_DEP_2)
	v_fma_f64 v[60:61], v[153:154], s[12:13], v[60:61]
	v_fma_f64 v[62:63], v[143:144], s[2:3], v[62:63]
	s_delay_alu instid0(VALU_DEP_2) | instskip(NEXT) | instid1(VALU_DEP_2)
	v_fma_f64 v[60:61], v[81:82], s[14:15], v[60:61]
	v_fma_f64 v[62:63], v[79:80], s[14:15], v[62:63]
	s_delay_alu instid0(VALU_DEP_2) | instskip(NEXT) | instid1(VALU_DEP_1)
	v_mul_f64_e32 v[64:65], s[16:17], v[60:61]
	v_fma_f64 v[64:65], v[62:63], s[14:15], v[64:65]
	v_mul_f64_e32 v[62:63], s[18:19], v[62:63]
	s_delay_alu instid0(VALU_DEP_1) | instskip(SKIP_2) | instid1(VALU_DEP_2)
	v_fma_f64 v[66:67], v[60:61], s[14:15], v[62:63]
	v_fma_f64 v[60:61], v[123:124], s[18:19], v[103:104]
	;; [unrolled: 1-line block ×4, first 2 shown]
	s_delay_alu instid0(VALU_DEP_2) | instskip(NEXT) | instid1(VALU_DEP_2)
	v_fma_f64 v[62:63], v[113:114], s[12:13], v[62:63]
	v_fma_f64 v[86:87], v[68:69], s[14:15], v[60:61]
	s_delay_alu instid0(VALU_DEP_2) | instskip(NEXT) | instid1(VALU_DEP_2)
	v_fma_f64 v[88:89], v[70:71], s[14:15], v[62:63]
	v_add_f64_e32 v[60:61], v[86:87], v[64:65]
	v_add_f64_e64 v[64:65], v[86:87], -v[64:65]
	v_fma_f64 v[86:87], v[165:166], s[16:17], v[147:148]
	s_delay_alu instid0(VALU_DEP_4) | instskip(SKIP_1) | instid1(VALU_DEP_3)
	v_add_f64_e32 v[62:63], v[88:89], v[66:67]
	v_add_f64_e64 v[66:67], v[88:89], -v[66:67]
	v_fma_f64 v[86:87], v[143:144], s[12:13], v[86:87]
	s_delay_alu instid0(VALU_DEP_1) | instskip(SKIP_1) | instid1(VALU_DEP_1)
	v_fma_f64 v[79:80], v[79:80], s[14:15], v[86:87]
	v_fma_f64 v[86:87], v[163:164], s[18:19], v[151:152]
	v_fma_f64 v[86:87], v[153:154], s[2:3], v[86:87]
	s_delay_alu instid0(VALU_DEP_1)
	v_fma_f64 v[81:82], v[81:82], s[14:15], v[86:87]
	v_fma_f64 v[86:87], v[123:124], s[16:17], v[103:104]
	v_lshlrev_b32_e32 v103, 4, v0
	ds_store_b128 v103, v[2:5]
	ds_store_b128 v103, v[6:9] offset:80
	ds_store_b128 v103, v[24:27] offset:16
	ds_store_b128 v103, v[20:23] offset:32
	ds_store_b128 v103, v[44:47] offset:48
	ds_store_b128 v103, v[10:13] offset:64
	ds_store_b128 v103, v[36:39] offset:96
	ds_store_b128 v103, v[40:43] offset:112
	ds_store_b128 v103, v[48:51] offset:128
	ds_store_b128 v103, v[14:17] offset:144
	v_fma_f64 v[86:87], v[107:108], s[12:13], v[86:87]
	s_delay_alu instid0(VALU_DEP_1) | instskip(SKIP_1) | instid1(VALU_DEP_1)
	v_fma_f64 v[86:87], v[68:69], s[14:15], v[86:87]
	v_fma_f64 v[68:69], v[125:126], s[18:19], v[105:106]
	;; [unrolled: 1-line block ×3, first 2 shown]
	s_delay_alu instid0(VALU_DEP_1) | instskip(SKIP_1) | instid1(VALU_DEP_1)
	v_fma_f64 v[88:89], v[70:71], s[14:15], v[68:69]
	v_mul_f64_e32 v[68:69], s[20:21], v[79:80]
	v_fma_f64 v[90:91], v[81:82], s[16:17], v[68:69]
	v_mul_f64_e32 v[68:69], s[20:21], v[81:82]
	s_delay_alu instid0(VALU_DEP_1) | instskip(NEXT) | instid1(VALU_DEP_3)
	v_fma_f64 v[82:83], v[79:80], s[18:19], v[68:69]
	v_add_f64_e32 v[69:70], v[86:87], v[90:91]
	v_add_f64_e64 v[80:81], v[86:87], -v[90:91]
	v_fma_f64 v[86:87], v[143:144], s[18:19], v[159:160]
	v_fma_f64 v[90:91], v[107:108], s[18:19], v[119:120]
	v_add_co_u32 v68, null, 0xa0, v192
	s_delay_alu instid0(VALU_DEP_1) | instskip(NEXT) | instid1(VALU_DEP_1)
	v_mul_u32_u24_e32 v0, 10, v68
	v_lshlrev_b32_e32 v102, 4, v0
	v_and_b32_e32 v0, 0xff, v1
	s_delay_alu instid0(VALU_DEP_1)
	v_mul_lo_u16 v0, 0xcd, v0
	v_add_f64_e32 v[71:72], v[88:89], v[82:83]
	v_add_f64_e64 v[82:83], v[88:89], -v[82:83]
	v_fma_f64 v[88:89], v[153:154], s[16:17], v[161:162]
	v_fma_f64 v[86:87], v[165:166], s[12:13], v[86:87]
	;; [unrolled: 1-line block ×3, first 2 shown]
	s_delay_alu instid0(VALU_DEP_3) | instskip(NEXT) | instid1(VALU_DEP_3)
	v_fma_f64 v[88:89], v[163:164], s[2:3], v[88:89]
	v_fma_f64 v[75:76], v[75:76], s[14:15], v[86:87]
	s_delay_alu instid0(VALU_DEP_3) | instskip(NEXT) | instid1(VALU_DEP_3)
	v_fma_f64 v[18:19], v[18:19], s[14:15], v[90:91]
	v_fma_f64 v[84:85], v[84:85], s[14:15], v[88:89]
	s_delay_alu instid0(VALU_DEP_3) | instskip(NEXT) | instid1(VALU_DEP_1)
	v_mul_f64_e32 v[86:87], s[22:23], v[75:76]
	v_fma_f64 v[88:89], v[84:85], s[2:3], v[86:87]
	v_mul_f64_e32 v[84:85], s[22:23], v[84:85]
	s_delay_alu instid0(VALU_DEP_1) | instskip(NEXT) | instid1(VALU_DEP_3)
	v_fma_f64 v[75:76], v[75:76], s[12:13], v[84:85]
	v_add_f64_e32 v[84:85], v[18:19], v[88:89]
	v_add_f64_e64 v[88:89], v[18:19], -v[88:89]
	s_delay_alu instid0(VALU_DEP_3)
	v_add_f64_e32 v[86:87], v[73:74], v[75:76]
	v_add_f64_e64 v[90:91], v[73:74], -v[75:76]
	ds_store_b128 v102, v[28:31]
	ds_store_b128 v102, v[52:55] offset:16
	ds_store_b128 v102, v[60:63] offset:32
	;; [unrolled: 1-line block ×9, first 2 shown]
	v_lshrrev_b16 v70, 11, v0
	global_wb scope:SCOPE_SE
	s_wait_dscnt 0x0
	s_barrier_signal -1
	s_barrier_wait -1
	global_inv scope:SCOPE_SE
	v_mul_lo_u16 v0, v70, 10
	ds_load_b128 v[2:5], v78 offset:5120
	ds_load_b128 v[148:151], v78 offset:43520
	;; [unrolled: 1-line block ×3, first 2 shown]
	ds_load_b128 v[168:171], v78
	ds_load_b128 v[176:179], v78 offset:2560
	v_sub_nc_u16 v0, v1, v0
	s_delay_alu instid0(VALU_DEP_1) | instskip(SKIP_1) | instid1(VALU_DEP_2)
	v_and_b32_e32 v69, 0xff, v0
	v_and_b32_e32 v0, 0xffff, v68
	v_mad_co_u64_u32 v[6:7], null, 0x90, v69, s[10:11]
	s_delay_alu instid0(VALU_DEP_2) | instskip(NEXT) | instid1(VALU_DEP_1)
	v_mul_u32_u24_e32 v0, 0xcccd, v0
	v_lshrrev_b32_e32 v71, 19, v0
	s_clause 0x2
	global_load_b128 v[124:127], v[6:7], off
	global_load_b128 v[128:131], v[6:7], off offset:16
	global_load_b128 v[10:13], v[6:7], off offset:32
	v_mul_lo_u16 v0, v71, 10
	s_delay_alu instid0(VALU_DEP_1) | instskip(NEXT) | instid1(VALU_DEP_1)
	v_sub_nc_u16 v72, v68, v0
	v_mul_lo_u16 v0, 0x90, v72
	s_delay_alu instid0(VALU_DEP_1) | instskip(NEXT) | instid1(VALU_DEP_1)
	v_and_b32_e32 v0, 0xffff, v0
	v_add_co_u32 v18, s26, s10, v0
	s_delay_alu instid0(VALU_DEP_1)
	v_add_co_ci_u32_e64 v19, null, s11, 0, s26
	v_and_b32_e32 v0, 0xffff, v70
	s_clause 0x3
	global_load_b128 v[24:27], v[18:19], off offset:48
	global_load_b128 v[40:43], v[18:19], off offset:64
	;; [unrolled: 1-line block ×4, first 2 shown]
	v_mul_u32_u24_e32 v0, 0x64, v0
	s_wait_loadcnt_dscnt 0x604
	v_mul_f64_e32 v[8:9], v[4:5], v[126:127]
	s_wait_loadcnt 0x4
	scratch_store_b128 off, v[10:13], off offset:340 ; 16-byte Folded Spill
	s_wait_loadcnt 0x3
	scratch_store_b128 off, v[24:27], off offset:500 ; 16-byte Folded Spill
	;; [unrolled: 2-line block ×4, first 2 shown]
	v_fma_f64 v[66:67], v[2:3], v[124:125], -v[8:9]
	v_mul_f64_e32 v[2:3], v[2:3], v[126:127]
	s_delay_alu instid0(VALU_DEP_1) | instskip(SKIP_3) | instid1(VALU_DEP_1)
	v_fma_f64 v[22:23], v[4:5], v[124:125], v[2:3]
	ds_load_b128 v[2:5], v78 offset:10240
	s_wait_dscnt 0x0
	v_mul_f64_e32 v[8:9], v[4:5], v[130:131]
	v_fma_f64 v[32:33], v[2:3], v[128:129], -v[8:9]
	v_mul_f64_e32 v[2:3], v[2:3], v[130:131]
	s_delay_alu instid0(VALU_DEP_1) | instskip(SKIP_3) | instid1(VALU_DEP_1)
	v_fma_f64 v[34:35], v[4:5], v[128:129], v[2:3]
	ds_load_b128 v[2:5], v78 offset:15360
	s_wait_dscnt 0x0
	v_mul_f64_e32 v[8:9], v[4:5], v[12:13]
	v_fma_f64 v[28:29], v[2:3], v[10:11], -v[8:9]
	v_mul_f64_e32 v[2:3], v[2:3], v[12:13]
	s_delay_alu instid0(VALU_DEP_1)
	v_fma_f64 v[38:39], v[4:5], v[10:11], v[2:3]
	global_load_b128 v[10:13], v[6:7], off offset:48
	ds_load_b128 v[2:5], v78 offset:20480
	v_add_f64_e32 v[79:80], v[22:23], v[38:39]
	s_wait_loadcnt_dscnt 0x0
	v_mul_f64_e32 v[8:9], v[4:5], v[12:13]
	scratch_store_b128 off, v[10:13], off offset:356 ; 16-byte Folded Spill
	v_fma_f64 v[44:45], v[2:3], v[10:11], -v[8:9]
	v_mul_f64_e32 v[2:3], v[2:3], v[12:13]
	s_delay_alu instid0(VALU_DEP_1)
	v_fma_f64 v[46:47], v[4:5], v[10:11], v[2:3]
	global_load_b128 v[10:13], v[6:7], off offset:64
	ds_load_b128 v[2:5], v78 offset:25600
	s_wait_loadcnt_dscnt 0x0
	v_mul_f64_e32 v[8:9], v[4:5], v[12:13]
	scratch_store_b128 off, v[10:13], off offset:372 ; 16-byte Folded Spill
	v_fma_f64 v[48:49], v[2:3], v[10:11], -v[8:9]
	v_mul_f64_e32 v[2:3], v[2:3], v[12:13]
	s_delay_alu instid0(VALU_DEP_1)
	v_fma_f64 v[50:51], v[4:5], v[10:11], v[2:3]
	global_load_b128 v[10:13], v[6:7], off offset:80
	ds_load_b128 v[2:5], v78 offset:30720
	v_add_f64_e32 v[79:80], v[79:80], v[50:51]
	s_wait_loadcnt_dscnt 0x0
	v_mul_f64_e32 v[8:9], v[4:5], v[12:13]
	scratch_store_b128 off, v[10:13], off offset:388 ; 16-byte Folded Spill
	v_fma_f64 v[52:53], v[2:3], v[10:11], -v[8:9]
	v_mul_f64_e32 v[2:3], v[2:3], v[12:13]
	s_delay_alu instid0(VALU_DEP_2) | instskip(NEXT) | instid1(VALU_DEP_2)
	v_add_f64_e64 v[120:121], v[44:45], -v[52:53]
	v_fma_f64 v[54:55], v[4:5], v[10:11], v[2:3]
	global_load_b128 v[10:13], v[6:7], off offset:96
	ds_load_b128 v[2:5], v78 offset:35840
	v_add_f64_e64 v[114:115], v[46:47], -v[54:55]
	s_wait_loadcnt_dscnt 0x0
	v_mul_f64_e32 v[8:9], v[4:5], v[12:13]
	scratch_store_b128 off, v[10:13], off offset:404 ; 16-byte Folded Spill
	v_fma_f64 v[56:57], v[2:3], v[10:11], -v[8:9]
	v_mul_f64_e32 v[2:3], v[2:3], v[12:13]
	s_delay_alu instid0(VALU_DEP_2) | instskip(NEXT) | instid1(VALU_DEP_2)
	v_add_f64_e64 v[95:96], v[48:49], -v[56:57]
	v_fma_f64 v[58:59], v[4:5], v[10:11], v[2:3]
	global_load_b128 v[10:13], v[6:7], off offset:112
	ds_load_b128 v[2:5], v78 offset:40960
	v_add_f64_e32 v[79:80], v[79:80], v[58:59]
	v_add_f64_e32 v[91:92], v[50:51], v[58:59]
	v_add_f64_e64 v[108:109], v[50:51], -v[58:59]
	s_delay_alu instid0(VALU_DEP_2)
	v_fma_f64 v[91:92], v[91:92], -0.5, v[22:23]
	s_wait_loadcnt_dscnt 0x0
	v_mul_f64_e32 v[8:9], v[4:5], v[12:13]
	scratch_store_b128 off, v[10:13], off offset:420 ; 16-byte Folded Spill
	v_fma_f64 v[60:61], v[2:3], v[10:11], -v[8:9]
	v_mul_f64_e32 v[2:3], v[2:3], v[12:13]
	global_load_b128 v[12:15], v[18:19], off offset:16
	v_add_f64_e64 v[118:119], v[32:33], -v[60:61]
	v_fma_f64 v[62:63], v[4:5], v[10:11], v[2:3]
	global_load_b128 v[8:11], v[6:7], off offset:128
	ds_load_b128 v[2:5], v78 offset:46080
	s_wait_loadcnt 0x1
	scratch_store_b128 off, v[12:15], off offset:468 ; 16-byte Folded Spill
	s_wait_loadcnt_dscnt 0x0
	v_mul_f64_e32 v[6:7], v[4:5], v[10:11]
	scratch_store_b128 off, v[8:11], off offset:436 ; 16-byte Folded Spill
	v_fma_f64 v[152:153], v[2:3], v[8:9], -v[6:7]
	v_mul_f64_e32 v[2:3], v[2:3], v[10:11]
	s_delay_alu instid0(VALU_DEP_2) | instskip(NEXT) | instid1(VALU_DEP_2)
	v_add_f64_e64 v[93:94], v[28:29], -v[152:153]
	v_fma_f64 v[156:157], v[4:5], v[8:9], v[2:3]
	global_load_b128 v[8:11], v[18:19], off
	ds_load_b128 v[2:5], v78 offset:7680
	v_fma_f64 v[97:98], v[93:94], s[18:19], v[91:92]
	v_add_f64_e32 v[79:80], v[79:80], v[156:157]
	v_add_f64_e64 v[89:90], v[156:157], -v[58:59]
	v_add_f64_e64 v[99:100], v[38:39], -v[156:157]
	s_delay_alu instid0(VALU_DEP_4)
	v_fma_f64 v[97:98], v[95:96], s[12:13], v[97:98]
	s_wait_loadcnt_dscnt 0x0
	v_mul_f64_e32 v[6:7], v[4:5], v[10:11]
	scratch_store_b128 off, v[8:11], off offset:452 ; 16-byte Folded Spill
	v_fma_f64 v[64:65], v[2:3], v[8:9], -v[6:7]
	v_mul_f64_e32 v[2:3], v[2:3], v[10:11]
	s_delay_alu instid0(VALU_DEP_1) | instskip(SKIP_3) | instid1(VALU_DEP_1)
	v_fma_f64 v[2:3], v[4:5], v[8:9], v[2:3]
	ds_load_b128 v[8:11], v78 offset:12800
	s_wait_dscnt 0x0
	v_mul_f64_e32 v[4:5], v[10:11], v[14:15]
	v_fma_f64 v[6:7], v[8:9], v[12:13], -v[4:5]
	v_mul_f64_e32 v[4:5], v[8:9], v[14:15]
	global_load_b128 v[14:17], v[18:19], off offset:32
	v_add_f64_e32 v[81:82], v[176:177], v[6:7]
	v_fma_f64 v[8:9], v[10:11], v[12:13], v[4:5]
	ds_load_b128 v[10:13], v78 offset:17920
	v_add_f64_e32 v[83:84], v[178:179], v[8:9]
	s_wait_loadcnt_dscnt 0x0
	v_mul_f64_e32 v[4:5], v[12:13], v[16:17]
	scratch_store_b128 off, v[14:17], off offset:484 ; 16-byte Folded Spill
	v_fma_f64 v[4:5], v[10:11], v[14:15], -v[4:5]
	v_mul_f64_e32 v[10:11], v[10:11], v[16:17]
	s_delay_alu instid0(VALU_DEP_2) | instskip(NEXT) | instid1(VALU_DEP_2)
	v_add_f64_e32 v[85:86], v[64:65], v[4:5]
	v_fma_f64 v[10:11], v[12:13], v[14:15], v[10:11]
	ds_load_b128 v[14:17], v78 offset:23040
	s_wait_dscnt 0x0
	v_mul_f64_e32 v[12:13], v[16:17], v[26:27]
	v_add_f64_e32 v[87:88], v[2:3], v[10:11]
	s_delay_alu instid0(VALU_DEP_2) | instskip(SKIP_1) | instid1(VALU_DEP_2)
	v_fma_f64 v[12:13], v[14:15], v[24:25], -v[12:13]
	v_mul_f64_e32 v[14:15], v[14:15], v[26:27]
	v_add_f64_e32 v[81:82], v[81:82], v[12:13]
	s_delay_alu instid0(VALU_DEP_2)
	v_fma_f64 v[14:15], v[16:17], v[24:25], v[14:15]
	ds_load_b128 v[24:27], v78 offset:28160
	s_wait_dscnt 0x0
	v_mul_f64_e32 v[16:17], v[26:27], v[42:43]
	v_mul_f64_e32 v[20:21], v[24:25], v[42:43]
	v_add_f64_e32 v[83:84], v[83:84], v[14:15]
	s_delay_alu instid0(VALU_DEP_3) | instskip(NEXT) | instid1(VALU_DEP_3)
	v_fma_f64 v[16:17], v[24:25], v[40:41], -v[16:17]
	v_fma_f64 v[20:21], v[26:27], v[40:41], v[20:21]
	ds_load_b128 v[40:43], v78 offset:33280
	s_wait_dscnt 0x0
	v_mul_f64_e32 v[24:25], v[42:43], v[75:76]
	v_mul_f64_e32 v[26:27], v[40:41], v[75:76]
	v_add_f64_e32 v[85:86], v[85:86], v[16:17]
	v_add_f64_e32 v[87:88], v[87:88], v[20:21]
	s_delay_alu instid0(VALU_DEP_4) | instskip(NEXT) | instid1(VALU_DEP_4)
	v_fma_f64 v[24:25], v[40:41], v[73:74], -v[24:25]
	v_fma_f64 v[26:27], v[42:43], v[73:74], v[26:27]
	global_load_b128 v[73:76], v[18:19], off offset:96
	ds_load_b128 v[40:43], v78 offset:38400
	v_add_f64_e32 v[81:82], v[81:82], v[24:25]
	v_add_f64_e32 v[83:84], v[83:84], v[26:27]
	s_wait_loadcnt_dscnt 0x0
	v_mul_f64_e32 v[30:31], v[42:43], v[75:76]
	v_mul_f64_e32 v[36:37], v[40:41], v[75:76]
	scratch_store_b128 off, v[73:76], off offset:548 ; 16-byte Folded Spill
	v_fma_f64 v[30:31], v[40:41], v[73:74], -v[30:31]
	v_fma_f64 v[36:37], v[42:43], v[73:74], v[36:37]
	global_load_b128 v[73:76], v[18:19], off offset:128
	v_mul_f64_e32 v[40:41], v[150:151], v[106:107]
	v_mul_f64_e32 v[42:43], v[148:149], v[106:107]
	v_add_f64_e32 v[85:86], v[85:86], v[30:31]
	v_add_f64_e32 v[87:88], v[87:88], v[36:37]
	s_delay_alu instid0(VALU_DEP_4) | instskip(NEXT) | instid1(VALU_DEP_4)
	v_fma_f64 v[40:41], v[148:149], v[104:105], -v[40:41]
	v_fma_f64 v[42:43], v[150:151], v[104:105], v[42:43]
	s_delay_alu instid0(VALU_DEP_2) | instskip(NEXT) | instid1(VALU_DEP_2)
	v_add_f64_e32 v[81:82], v[81:82], v[40:41]
	v_add_f64_e32 v[83:84], v[83:84], v[42:43]
	s_wait_loadcnt 0x0
	v_mul_f64_e32 v[18:19], v[160:161], v[75:76]
	scratch_store_b128 off, v[73:76], off offset:564 ; 16-byte Folded Spill
	global_wb scope:SCOPE_SE
	s_wait_storecnt 0x0
	s_barrier_signal -1
	s_barrier_wait -1
	global_inv scope:SCOPE_SE
	v_fma_f64 v[154:155], v[158:159], v[73:74], -v[18:19]
	v_mul_f64_e32 v[18:19], v[158:159], v[75:76]
	v_add_f64_e32 v[75:76], v[66:67], v[28:29]
	s_delay_alu instid0(VALU_DEP_3) | instskip(NEXT) | instid1(VALU_DEP_3)
	v_add_f64_e32 v[85:86], v[85:86], v[154:155]
	v_fma_f64 v[158:159], v[160:161], v[73:74], v[18:19]
	v_add_f64_e32 v[18:19], v[44:45], v[52:53]
	v_add_f64_e32 v[73:74], v[170:171], v[34:35]
	;; [unrolled: 1-line block ×3, first 2 shown]
	v_add_f64_e64 v[180:181], v[81:82], -v[85:86]
	v_add_f64_e32 v[87:88], v[87:88], v[158:159]
	v_fma_f64 v[160:161], v[18:19], -0.5, v[168:169]
	v_add_f64_e32 v[18:19], v[32:33], v[60:61]
	v_add_f64_e32 v[73:74], v[73:74], v[46:47]
	;; [unrolled: 1-line block ×3, first 2 shown]
	v_add_f64_e64 v[182:183], v[83:84], -v[87:88]
	s_delay_alu instid0(VALU_DEP_4) | instskip(SKIP_3) | instid1(VALU_DEP_3)
	v_fma_f64 v[164:165], v[18:19], -0.5, v[168:169]
	v_add_f64_e32 v[18:19], v[46:47], v[54:55]
	v_add_f64_e32 v[73:74], v[73:74], v[54:55]
	;; [unrolled: 1-line block ×3, first 2 shown]
	v_fma_f64 v[162:163], v[18:19], -0.5, v[170:171]
	v_add_f64_e32 v[18:19], v[34:35], v[62:63]
	s_delay_alu instid0(VALU_DEP_4) | instskip(NEXT) | instid1(VALU_DEP_3)
	v_add_f64_e32 v[73:74], v[73:74], v[62:63]
	v_fma_f64 v[122:123], v[118:119], s[18:19], v[162:163]
	s_delay_alu instid0(VALU_DEP_3) | instskip(SKIP_1) | instid1(VALU_DEP_4)
	v_fma_f64 v[166:167], v[18:19], -0.5, v[170:171]
	v_add_f64_e32 v[18:19], v[168:169], v[32:33]
	v_add_f64_e32 v[170:171], v[73:74], v[79:80]
	v_add_f64_e64 v[174:175], v[73:74], -v[79:80]
	v_add_f64_e32 v[73:74], v[6:7], v[40:41]
	v_add_f64_e32 v[79:80], v[8:9], v[42:43]
	v_fma_f64 v[122:123], v[120:121], s[12:13], v[122:123]
	v_add_f64_e32 v[18:19], v[18:19], v[44:45]
	s_delay_alu instid0(VALU_DEP_4) | instskip(NEXT) | instid1(VALU_DEP_4)
	v_fma_f64 v[73:74], v[73:74], -0.5, v[176:177]
	v_fma_f64 v[79:80], v[79:80], -0.5, v[178:179]
	s_delay_alu instid0(VALU_DEP_3) | instskip(NEXT) | instid1(VALU_DEP_1)
	v_add_f64_e32 v[18:19], v[18:19], v[52:53]
	v_add_f64_e32 v[18:19], v[18:19], v[60:61]
	s_delay_alu instid0(VALU_DEP_1) | instskip(SKIP_3) | instid1(VALU_DEP_2)
	v_add_f64_e32 v[168:169], v[18:19], v[75:76]
	v_add_f64_e64 v[172:173], v[18:19], -v[75:76]
	v_add_f64_e32 v[18:19], v[12:13], v[24:25]
	v_add_f64_e32 v[75:76], v[14:15], v[26:27]
	v_fma_f64 v[18:19], v[18:19], -0.5, v[176:177]
	s_delay_alu instid0(VALU_DEP_2)
	v_fma_f64 v[75:76], v[75:76], -0.5, v[178:179]
	v_add_f64_e32 v[176:177], v[81:82], v[85:86]
	v_add_f64_e32 v[178:179], v[83:84], v[87:88]
	v_add_f64_e64 v[81:82], v[32:33], -v[44:45]
	v_add_f64_e64 v[83:84], v[60:61], -v[52:53]
	;; [unrolled: 1-line block ×7, first 2 shown]
	v_add_f64_e32 v[81:82], v[81:82], v[83:84]
	v_add_f64_e64 v[83:84], v[34:35], -v[46:47]
	s_delay_alu instid0(VALU_DEP_1) | instskip(SKIP_1) | instid1(VALU_DEP_2)
	v_add_f64_e32 v[83:84], v[83:84], v[85:86]
	v_add_f64_e64 v[85:86], v[28:29], -v[48:49]
	v_fma_f64 v[122:123], v[83:84], s[14:15], v[122:123]
	s_delay_alu instid0(VALU_DEP_2) | instskip(SKIP_3) | instid1(VALU_DEP_3)
	v_add_f64_e32 v[85:86], v[85:86], v[87:88]
	v_add_f64_e64 v[87:88], v[38:39], -v[50:51]
	v_add_f64_e64 v[50:51], v[50:51], -v[38:39]
	v_add_f64_e32 v[38:39], v[38:39], v[156:157]
	v_add_f64_e32 v[87:88], v[87:88], v[89:90]
	;; [unrolled: 1-line block ×3, first 2 shown]
	v_add_f64_e64 v[48:49], v[48:49], -v[28:29]
	v_add_f64_e32 v[28:29], v[28:29], v[152:153]
	v_fma_f64 v[22:23], v[38:39], -0.5, v[22:23]
	v_add_f64_e32 v[38:39], v[32:33], v[44:45]
	v_add_f64_e32 v[50:51], v[50:51], v[52:53]
	v_fma_f64 v[97:98], v[87:88], s[14:15], v[97:98]
	v_fma_f64 v[89:90], v[89:90], -0.5, v[66:67]
	v_fma_f64 v[28:29], v[28:29], -0.5, v[66:67]
	v_fma_f64 v[32:33], v[95:96], s[16:17], v[22:23]
	v_fma_f64 v[22:23], v[95:96], s[18:19], v[22:23]
	v_add_f64_e64 v[66:67], v[154:155], -v[30:31]
	v_mul_f64_e32 v[112:113], s[2:3], v[97:98]
	v_fma_f64 v[110:111], v[99:100], s[16:17], v[89:90]
	v_fma_f64 v[32:33], v[93:94], s[12:13], v[32:33]
	;; [unrolled: 1-line block ×3, first 2 shown]
	s_delay_alu instid0(VALU_DEP_3) | instskip(NEXT) | instid1(VALU_DEP_3)
	v_fma_f64 v[110:111], v[108:109], s[2:3], v[110:111]
	v_fma_f64 v[32:33], v[50:51], s[14:15], v[32:33]
	s_delay_alu instid0(VALU_DEP_3) | instskip(NEXT) | instid1(VALU_DEP_3)
	v_fma_f64 v[22:23], v[50:51], s[14:15], v[22:23]
	v_fma_f64 v[110:111], v[85:86], s[14:15], v[110:111]
	s_delay_alu instid0(VALU_DEP_3) | instskip(NEXT) | instid1(VALU_DEP_2)
	v_mul_f64_e32 v[44:45], s[16:17], v[32:33]
	v_fma_f64 v[112:113], v[110:111], s[24:25], v[112:113]
	v_mul_f64_e32 v[110:111], s[12:13], v[110:111]
	s_delay_alu instid0(VALU_DEP_1)
	v_fma_f64 v[97:98], v[97:98], s[24:25], v[110:111]
	v_add_f64_e64 v[110:111], v[34:35], -v[62:63]
	v_add_f64_e64 v[34:35], v[46:47], -v[34:35]
	;; [unrolled: 1-line block ×4, first 2 shown]
	v_add_f64_e32 v[186:187], v[122:123], v[97:98]
	v_fma_f64 v[116:117], v[110:111], s[16:17], v[160:161]
	v_add_f64_e64 v[190:191], v[122:123], -v[97:98]
	v_add_f64_e32 v[56:57], v[34:35], v[46:47]
	v_fma_f64 v[34:35], v[108:109], s[18:19], v[28:29]
	v_add_f64_e32 v[48:49], v[48:49], v[54:55]
	v_fma_f64 v[28:29], v[108:109], s[16:17], v[28:29]
	v_fma_f64 v[116:117], v[114:115], s[2:3], v[116:117]
	s_delay_alu instid0(VALU_DEP_4) | instskip(NEXT) | instid1(VALU_DEP_3)
	v_fma_f64 v[34:35], v[99:100], s[2:3], v[34:35]
	v_fma_f64 v[28:29], v[99:100], s[12:13], v[28:29]
	s_delay_alu instid0(VALU_DEP_3) | instskip(NEXT) | instid1(VALU_DEP_3)
	v_fma_f64 v[116:117], v[81:82], s[14:15], v[116:117]
	v_fma_f64 v[34:35], v[48:49], s[14:15], v[34:35]
	s_delay_alu instid0(VALU_DEP_3) | instskip(NEXT) | instid1(VALU_DEP_3)
	v_fma_f64 v[28:29], v[48:49], s[14:15], v[28:29]
	v_add_f64_e32 v[184:185], v[116:117], v[112:113]
	v_add_f64_e64 v[188:189], v[116:117], -v[112:113]
	v_add_f64_e64 v[112:113], v[12:13], -v[24:25]
	v_fma_f64 v[44:45], v[34:35], s[14:15], v[44:45]
	v_mul_f64_e32 v[34:35], s[18:19], v[34:35]
	v_mul_f64_e32 v[48:49], s[20:21], v[28:29]
	s_delay_alu instid0(VALU_DEP_2) | instskip(SKIP_2) | instid1(VALU_DEP_2)
	v_fma_f64 v[46:47], v[32:33], s[14:15], v[34:35]
	v_fma_f64 v[32:33], v[114:115], s[18:19], v[164:165]
	;; [unrolled: 1-line block ×4, first 2 shown]
	s_delay_alu instid0(VALU_DEP_2) | instskip(NEXT) | instid1(VALU_DEP_2)
	v_fma_f64 v[34:35], v[118:119], s[12:13], v[34:35]
	v_fma_f64 v[52:53], v[38:39], s[14:15], v[32:33]
	s_delay_alu instid0(VALU_DEP_2) | instskip(NEXT) | instid1(VALU_DEP_2)
	v_fma_f64 v[54:55], v[56:57], s[14:15], v[34:35]
	v_add_f64_e32 v[32:33], v[52:53], v[44:45]
	v_add_f64_e64 v[44:45], v[52:53], -v[44:45]
	v_fma_f64 v[52:53], v[114:115], s[16:17], v[164:165]
	s_delay_alu instid0(VALU_DEP_4) | instskip(SKIP_1) | instid1(VALU_DEP_3)
	v_add_f64_e32 v[34:35], v[54:55], v[46:47]
	v_add_f64_e64 v[46:47], v[54:55], -v[46:47]
	v_fma_f64 v[52:53], v[110:111], s[12:13], v[52:53]
	s_delay_alu instid0(VALU_DEP_1) | instskip(SKIP_1) | instid1(VALU_DEP_1)
	v_fma_f64 v[38:39], v[38:39], s[14:15], v[52:53]
	v_fma_f64 v[52:53], v[120:121], s[18:19], v[166:167]
	;; [unrolled: 1-line block ×3, first 2 shown]
	s_delay_alu instid0(VALU_DEP_1)
	v_fma_f64 v[54:55], v[56:57], s[14:15], v[52:53]
	v_fma_f64 v[52:53], v[22:23], s[16:17], v[48:49]
	v_mul_f64_e32 v[22:23], s[20:21], v[22:23]
	v_fma_f64 v[56:57], v[93:94], s[16:17], v[91:92]
	v_add_f64_e64 v[91:92], v[10:11], -v[158:159]
	v_add_f64_e64 v[93:94], v[20:21], -v[36:37]
	v_add_f64_e32 v[48:49], v[38:39], v[52:53]
	v_fma_f64 v[22:23], v[28:29], s[18:19], v[22:23]
	v_fma_f64 v[56:57], v[95:96], s[2:3], v[56:57]
	v_add_f64_e64 v[52:53], v[38:39], -v[52:53]
	v_fma_f64 v[28:29], v[110:111], s[18:19], v[160:161]
	v_fma_f64 v[38:39], v[118:119], s[16:17], v[162:163]
	v_add_f64_e64 v[110:111], v[6:7], -v[40:41]
	v_add_f64_e32 v[50:51], v[54:55], v[22:23]
	v_add_f64_e64 v[54:55], v[54:55], -v[22:23]
	v_fma_f64 v[22:23], v[99:100], s[18:19], v[89:90]
	v_fma_f64 v[56:57], v[87:88], s[14:15], v[56:57]
	v_fma_f64 v[28:29], v[114:115], s[12:13], v[28:29]
	v_fma_f64 v[38:39], v[120:121], s[2:3], v[38:39]
	v_add_f64_e64 v[87:88], v[16:17], -v[30:31]
	v_add_f64_e64 v[99:100], v[14:15], -v[26:27]
	v_fma_f64 v[114:115], v[110:111], s[18:19], v[75:76]
	v_fma_f64 v[22:23], v[108:109], s[12:13], v[22:23]
	;; [unrolled: 1-line block ×4, first 2 shown]
	v_add_f64_e64 v[81:82], v[158:159], -v[36:37]
	v_add_f64_e32 v[83:84], v[20:21], v[36:37]
	v_fma_f64 v[114:115], v[112:113], s[12:13], v[114:115]
	v_fma_f64 v[22:23], v[85:86], s[14:15], v[22:23]
	v_add_f64_e64 v[85:86], v[4:5], -v[154:155]
	s_delay_alu instid0(VALU_DEP_4) | instskip(NEXT) | instid1(VALU_DEP_3)
	v_fma_f64 v[83:84], v[83:84], -0.5, v[2:3]
	v_mul_f64_e32 v[58:59], s[22:23], v[22:23]
	s_delay_alu instid0(VALU_DEP_2) | instskip(NEXT) | instid1(VALU_DEP_2)
	v_fma_f64 v[89:90], v[85:86], s[18:19], v[83:84]
	v_fma_f64 v[60:61], v[56:57], s[2:3], v[58:59]
	v_mul_f64_e32 v[56:57], s[22:23], v[56:57]
	s_delay_alu instid0(VALU_DEP_3) | instskip(NEXT) | instid1(VALU_DEP_2)
	v_fma_f64 v[89:90], v[87:88], s[12:13], v[89:90]
	v_fma_f64 v[22:23], v[22:23], s[12:13], v[56:57]
	s_delay_alu instid0(VALU_DEP_4) | instskip(SKIP_2) | instid1(VALU_DEP_4)
	v_add_f64_e32 v[56:57], v[28:29], v[60:61]
	v_add_f64_e64 v[60:61], v[28:29], -v[60:61]
	v_add_f64_e64 v[28:29], v[40:41], -v[24:25]
	v_add_f64_e32 v[58:59], v[38:39], v[22:23]
	v_add_f64_e64 v[62:63], v[38:39], -v[22:23]
	v_add_f64_e64 v[22:23], v[6:7], -v[12:13]
	;; [unrolled: 1-line block ×6, first 2 shown]
	v_add_f64_e32 v[22:23], v[22:23], v[28:29]
	v_add_f64_e64 v[28:29], v[8:9], -v[14:15]
	s_delay_alu instid0(VALU_DEP_4) | instskip(NEXT) | instid1(VALU_DEP_2)
	v_add_f64_e32 v[12:13], v[6:7], v[12:13]
	v_add_f64_e32 v[28:29], v[28:29], v[38:39]
	v_add_f64_e64 v[38:39], v[4:5], -v[16:17]
	s_delay_alu instid0(VALU_DEP_2) | instskip(NEXT) | instid1(VALU_DEP_2)
	v_fma_f64 v[114:115], v[28:29], s[14:15], v[114:115]
	v_add_f64_e32 v[38:39], v[38:39], v[66:67]
	v_add_f64_e64 v[66:67], v[10:11], -v[20:21]
	v_add_f64_e64 v[20:21], v[20:21], -v[10:11]
	v_add_f64_e32 v[10:11], v[10:11], v[158:159]
	s_delay_alu instid0(VALU_DEP_3)
	v_add_f64_e32 v[66:67], v[66:67], v[81:82]
	v_add_f64_e32 v[81:82], v[16:17], v[30:31]
	v_add_f64_e64 v[16:17], v[16:17], -v[4:5]
	v_add_f64_e32 v[4:5], v[4:5], v[154:155]
	v_fma_f64 v[10:11], v[10:11], -0.5, v[2:3]
	v_add_f64_e32 v[20:21], v[20:21], v[24:25]
	v_fma_f64 v[89:90], v[66:67], s[14:15], v[89:90]
	v_fma_f64 v[81:82], v[81:82], -0.5, v[64:65]
	v_fma_f64 v[24:25], v[4:5], -0.5, v[64:65]
	v_fma_f64 v[2:3], v[87:88], s[16:17], v[10:11]
	v_fma_f64 v[10:11], v[87:88], s[18:19], v[10:11]
	v_mul_f64_e32 v[97:98], s[2:3], v[89:90]
	v_fma_f64 v[95:96], v[91:92], s[16:17], v[81:82]
	v_fma_f64 v[4:5], v[93:94], s[18:19], v[24:25]
	;; [unrolled: 1-line block ×4, first 2 shown]
	s_delay_alu instid0(VALU_DEP_4) | instskip(NEXT) | instid1(VALU_DEP_4)
	v_fma_f64 v[95:96], v[93:94], s[2:3], v[95:96]
	v_fma_f64 v[4:5], v[91:92], s[2:3], v[4:5]
	s_delay_alu instid0(VALU_DEP_4) | instskip(NEXT) | instid1(VALU_DEP_4)
	v_fma_f64 v[2:3], v[20:21], s[14:15], v[2:3]
	v_fma_f64 v[10:11], v[20:21], s[14:15], v[10:11]
	;; [unrolled: 1-line block ×4, first 2 shown]
	s_delay_alu instid0(VALU_DEP_4) | instskip(NEXT) | instid1(VALU_DEP_3)
	v_mul_f64_e32 v[6:7], s[16:17], v[2:3]
	v_fma_f64 v[20:21], v[93:94], s[12:13], v[20:21]
	s_delay_alu instid0(VALU_DEP_3) | instskip(SKIP_1) | instid1(VALU_DEP_3)
	v_fma_f64 v[97:98], v[95:96], s[24:25], v[97:98]
	v_mul_f64_e32 v[95:96], s[12:13], v[95:96]
	v_fma_f64 v[20:21], v[38:39], s[14:15], v[20:21]
	s_delay_alu instid0(VALU_DEP_2)
	v_fma_f64 v[89:90], v[89:90], s[24:25], v[95:96]
	v_add_f64_e64 v[95:96], v[8:9], -v[42:43]
	v_add_f64_e64 v[8:9], v[14:15], -v[8:9]
	;; [unrolled: 1-line block ×4, first 2 shown]
	v_add_f64_e32 v[162:163], v[114:115], v[89:90]
	v_fma_f64 v[108:109], v[95:96], s[16:17], v[18:19]
	v_fma_f64 v[18:19], v[95:96], s[18:19], v[18:19]
	v_add_f64_e32 v[14:15], v[8:9], v[14:15]
	v_add_f64_e32 v[16:17], v[16:17], v[26:27]
	v_add_f64_e64 v[166:167], v[114:115], -v[89:90]
	v_add_lshl_u32 v114, v0, v69, 4
	v_mad_u16 v0, 0x64, v71, v72
	ds_store_b128 v114, v[168:171]
	ds_store_b128 v114, v[172:175] offset:800
	ds_store_b128 v114, v[184:187] offset:160
	;; [unrolled: 1-line block ×9, first 2 shown]
	v_and_b32_e32 v0, 0xffff, v0
	s_delay_alu instid0(VALU_DEP_1) | instskip(SKIP_4) | instid1(VALU_DEP_3)
	v_lshlrev_b32_e32 v117, 4, v0
	v_add_nc_u32_e32 v0, 0xffffff9c, v192
	v_fma_f64 v[108:109], v[99:100], s[2:3], v[108:109]
	v_fma_f64 v[18:19], v[99:100], s[12:13], v[18:19]
	;; [unrolled: 1-line block ×4, first 2 shown]
	s_delay_alu instid0(VALU_DEP_3) | instskip(NEXT) | instid1(VALU_DEP_3)
	v_fma_f64 v[18:19], v[22:23], s[14:15], v[18:19]
	v_fma_f64 v[6:7], v[4:5], s[14:15], v[6:7]
	v_mul_f64_e32 v[4:5], s[18:19], v[4:5]
	s_delay_alu instid0(VALU_DEP_4) | instskip(SKIP_1) | instid1(VALU_DEP_3)
	v_add_f64_e32 v[160:161], v[108:109], v[97:98]
	v_add_f64_e64 v[164:165], v[108:109], -v[97:98]
	v_fma_f64 v[8:9], v[2:3], s[14:15], v[4:5]
	v_fma_f64 v[2:3], v[99:100], s[18:19], v[73:74]
	;; [unrolled: 1-line block ×3, first 2 shown]
	s_delay_alu instid0(VALU_DEP_2) | instskip(NEXT) | instid1(VALU_DEP_2)
	v_fma_f64 v[2:3], v[95:96], s[2:3], v[2:3]
	v_fma_f64 v[4:5], v[110:111], s[12:13], v[4:5]
	s_delay_alu instid0(VALU_DEP_2) | instskip(NEXT) | instid1(VALU_DEP_2)
	v_fma_f64 v[26:27], v[12:13], s[14:15], v[2:3]
	v_fma_f64 v[30:31], v[14:15], s[14:15], v[4:5]
	s_delay_alu instid0(VALU_DEP_2) | instskip(SKIP_2) | instid1(VALU_DEP_4)
	v_add_f64_e32 v[2:3], v[26:27], v[6:7]
	v_add_f64_e64 v[6:7], v[26:27], -v[6:7]
	v_fma_f64 v[26:27], v[99:100], s[16:17], v[73:74]
	v_add_f64_e32 v[4:5], v[30:31], v[8:9]
	v_add_f64_e64 v[8:9], v[30:31], -v[8:9]
	s_delay_alu instid0(VALU_DEP_3) | instskip(NEXT) | instid1(VALU_DEP_1)
	v_fma_f64 v[26:27], v[95:96], s[12:13], v[26:27]
	v_fma_f64 v[26:27], v[12:13], s[14:15], v[26:27]
	;; [unrolled: 1-line block ×3, first 2 shown]
	s_delay_alu instid0(VALU_DEP_1) | instskip(NEXT) | instid1(VALU_DEP_1)
	v_fma_f64 v[12:13], v[110:111], s[2:3], v[12:13]
	v_fma_f64 v[30:31], v[14:15], s[14:15], v[12:13]
	;; [unrolled: 1-line block ×4, first 2 shown]
	s_delay_alu instid0(VALU_DEP_2) | instskip(NEXT) | instid1(VALU_DEP_2)
	v_fma_f64 v[12:13], v[91:92], s[12:13], v[12:13]
	v_fma_f64 v[24:25], v[87:88], s[2:3], v[24:25]
	s_delay_alu instid0(VALU_DEP_2) | instskip(NEXT) | instid1(VALU_DEP_2)
	v_fma_f64 v[12:13], v[16:17], s[14:15], v[12:13]
	v_fma_f64 v[22:23], v[66:67], s[14:15], v[24:25]
	v_mul_f64_e32 v[24:25], s[22:23], v[20:21]
	s_delay_alu instid0(VALU_DEP_3) | instskip(NEXT) | instid1(VALU_DEP_2)
	v_mul_f64_e32 v[14:15], s[20:21], v[12:13]
	v_fma_f64 v[24:25], v[22:23], s[2:3], v[24:25]
	v_mul_f64_e32 v[22:23], s[22:23], v[22:23]
	s_delay_alu instid0(VALU_DEP_3) | instskip(SKIP_1) | instid1(VALU_DEP_1)
	v_fma_f64 v[14:15], v[10:11], s[16:17], v[14:15]
	v_mul_f64_e32 v[10:11], s[20:21], v[10:11]
	v_fma_f64 v[16:17], v[12:13], s[18:19], v[10:11]
	s_delay_alu instid0(VALU_DEP_3) | instskip(SKIP_2) | instid1(VALU_DEP_4)
	v_add_f64_e32 v[10:11], v[26:27], v[14:15]
	v_add_f64_e64 v[14:15], v[26:27], -v[14:15]
	v_fma_f64 v[26:27], v[110:111], s[16:17], v[75:76]
	v_add_f64_e32 v[12:13], v[30:31], v[16:17]
	v_add_f64_e64 v[16:17], v[30:31], -v[16:17]
	s_delay_alu instid0(VALU_DEP_3) | instskip(NEXT) | instid1(VALU_DEP_1)
	v_fma_f64 v[26:27], v[112:113], s[2:3], v[26:27]
	v_fma_f64 v[26:27], v[28:29], s[14:15], v[26:27]
	;; [unrolled: 1-line block ×3, first 2 shown]
	v_add_f64_e32 v[20:21], v[18:19], v[24:25]
	v_add_f64_e64 v[24:25], v[18:19], -v[24:25]
	s_delay_alu instid0(VALU_DEP_3)
	v_add_f64_e32 v[22:23], v[26:27], v[28:29]
	v_add_f64_e64 v[26:27], v[26:27], -v[28:29]
	ds_store_b128 v117, v[176:179]
	ds_store_b128 v117, v[160:163] offset:160
	ds_store_b128 v117, v[2:5] offset:320
	;; [unrolled: 1-line block ×9, first 2 shown]
	v_cndmask_b32_e32 v17, v0, v192, vcc_lo
	global_wb scope:SCOPE_SE
	s_wait_dscnt 0x0
	s_barrier_signal -1
	s_barrier_wait -1
	global_inv scope:SCOPE_SE
	v_mul_i32_i24_e32 v0, 48, v17
	v_mul_hi_i32_i24_e32 v2, 48, v17
	ds_load_b128 v[20:23], v78 offset:48640
	v_add_co_u32 v14, null, 0x140, v192
	v_add_co_u32 v6, vcc_lo, s10, v0
	s_wait_alu 0xfffd
	v_add_co_ci_u32_e32 v7, vcc_lo, s11, v2, vcc_lo
	ds_load_b128 v[2:5], v78 offset:12800
	v_lshrrev_b16 v0, 2, v68
	v_cmp_lt_u16_e32 vcc_lo, 0x63, v1
	global_load_b128 v[10:13], v[6:7], off offset:1440
	v_and_b32_e32 v0, 0xffff, v0
	s_delay_alu instid0(VALU_DEP_1) | instskip(NEXT) | instid1(VALU_DEP_1)
	v_mul_u32_u24_e32 v0, 0x147b, v0
	v_lshrrev_b32_e32 v0, 17, v0
	s_wait_loadcnt_dscnt 0x0
	v_mul_f64_e32 v[8:9], v[4:5], v[12:13]
	scratch_store_b128 off, v[10:13], off offset:664 ; 16-byte Folded Spill
	v_fma_f64 v[18:19], v[2:3], v[10:11], -v[8:9]
	v_mul_f64_e32 v[2:3], v[2:3], v[12:13]
	s_delay_alu instid0(VALU_DEP_1)
	v_fma_f64 v[44:45], v[4:5], v[10:11], v[2:3]
	global_load_b128 v[10:13], v[6:7], off offset:1456
	ds_load_b128 v[2:5], v78 offset:25600
	s_wait_loadcnt_dscnt 0x0
	v_mul_f64_e32 v[8:9], v[4:5], v[12:13]
	scratch_store_b128 off, v[10:13], off offset:680 ; 16-byte Folded Spill
	v_fma_f64 v[24:25], v[2:3], v[10:11], -v[8:9]
	v_mul_f64_e32 v[2:3], v[2:3], v[12:13]
	s_delay_alu instid0(VALU_DEP_1) | instskip(SKIP_4) | instid1(VALU_DEP_1)
	v_fma_f64 v[26:27], v[4:5], v[10:11], v[2:3]
	global_load_b128 v[8:11], v[6:7], off offset:1472
	ds_load_b128 v[2:5], v78 offset:38400
	s_wait_loadcnt_dscnt 0x0
	v_mul_f64_e32 v[6:7], v[4:5], v[10:11]
	v_fma_f64 v[28:29], v[2:3], v[8:9], -v[6:7]
	v_mul_f64_e32 v[2:3], v[2:3], v[10:11]
	s_delay_alu instid0(VALU_DEP_2) | instskip(NEXT) | instid1(VALU_DEP_2)
	v_add_f64_e64 v[89:90], v[18:19], -v[28:29]
	v_fma_f64 v[30:31], v[4:5], v[8:9], v[2:3]
	v_mul_lo_u16 v2, 0x64, v0
	s_wait_alu 0xfffd
	v_cndmask_b32_e64 v28, 0, 0x190, vcc_lo
	v_cmp_gt_u16_e32 vcc_lo, 0x50, v1
	s_delay_alu instid0(VALU_DEP_3) | instskip(NEXT) | instid1(VALU_DEP_1)
	v_sub_nc_u16 v91, v68, v2
	v_mul_lo_u16 v2, v91, 48
	v_mad_u16 v0, 0x190, v0, v91
	s_delay_alu instid0(VALU_DEP_2)
	v_and_b32_e32 v2, 0xffff, v2
	v_add_lshl_u32 v96, v17, v28, 4
	scratch_store_b128 off, v[8:11], off offset:696 ; 16-byte Folded Spill
	v_and_b32_e32 v0, 0xffff, v0
	v_add_co_u32 v6, s26, s10, v2
	scratch_store_b32 off, v96, off offset:748 ; 4-byte Folded Spill
	s_wait_alu 0xf1ff
	v_add_co_ci_u32_e64 v7, null, s11, 0, s26
	ds_load_b128 v[2:5], v78 offset:15360
	v_lshlrev_b32_e32 v0, 4, v0
	s_clause 0x1
	global_load_b128 v[10:13], v[6:7], off offset:1440
	global_load_b128 v[212:215], v[6:7], off offset:1472
	v_fma_f64 v[17:18], v[18:19], 2.0, -v[89:90]
	v_add_f64_e64 v[87:88], v[44:45], -v[30:31]
	s_wait_loadcnt_dscnt 0x100
	v_mul_f64_e32 v[8:9], v[4:5], v[12:13]
	scratch_store_b128 off, v[10:13], off offset:712 ; 16-byte Folded Spill
	v_fma_f64 v[48:49], v[2:3], v[10:11], -v[8:9]
	v_mul_f64_e32 v[2:3], v[2:3], v[12:13]
	s_delay_alu instid0(VALU_DEP_1)
	v_fma_f64 v[50:51], v[4:5], v[10:11], v[2:3]
	global_load_b128 v[10:13], v[6:7], off offset:1456
	ds_load_b128 v[2:5], v78 offset:28160
	s_wait_loadcnt_dscnt 0x0
	v_mul_f64_e32 v[8:9], v[4:5], v[12:13]
	scratch_store_b128 off, v[10:13], off offset:728 ; 16-byte Folded Spill
	v_fma_f64 v[52:53], v[2:3], v[10:11], -v[8:9]
	v_mul_f64_e32 v[2:3], v[2:3], v[12:13]
	s_delay_alu instid0(VALU_DEP_1) | instskip(SKIP_3) | instid1(VALU_DEP_1)
	v_fma_f64 v[54:55], v[4:5], v[10:11], v[2:3]
	ds_load_b128 v[2:5], v78 offset:40960
	s_wait_dscnt 0x0
	v_mul_f64_e32 v[6:7], v[4:5], v[214:215]
	v_fma_f64 v[56:57], v[2:3], v[212:213], -v[6:7]
	v_mul_f64_e32 v[2:3], v[2:3], v[214:215]
	s_delay_alu instid0(VALU_DEP_1) | instskip(SKIP_1) | instid1(VALU_DEP_1)
	v_fma_f64 v[58:59], v[4:5], v[212:213], v[2:3]
	v_lshrrev_b16 v2, 2, v14
	v_and_b32_e32 v2, 0xffff, v2
	s_delay_alu instid0(VALU_DEP_1) | instskip(NEXT) | instid1(VALU_DEP_1)
	v_mul_u32_u24_e32 v2, 0x147b, v2
	v_lshrrev_b32_e32 v92, 17, v2
	s_delay_alu instid0(VALU_DEP_1) | instskip(NEXT) | instid1(VALU_DEP_1)
	v_mul_lo_u16 v2, 0x64, v92
	v_sub_nc_u16 v93, v14, v2
	s_delay_alu instid0(VALU_DEP_1) | instskip(NEXT) | instid1(VALU_DEP_1)
	v_mul_lo_u16 v2, v93, 48
	v_and_b32_e32 v2, 0xffff, v2
	s_delay_alu instid0(VALU_DEP_1)
	v_add_co_u32 v6, s26, s10, v2
	s_wait_alu 0xf1ff
	v_add_co_ci_u32_e64 v7, null, s11, 0, s26
	ds_load_b128 v[2:5], v78 offset:17920
	s_clause 0x2
	global_load_b128 v[216:219], v[6:7], off offset:1440
	global_load_b128 v[220:223], v[6:7], off offset:1456
	global_load_b128 v[224:227], v[6:7], off offset:1472
	s_wait_loadcnt_dscnt 0x200
	v_mul_f64_e32 v[8:9], v[4:5], v[218:219]
	s_delay_alu instid0(VALU_DEP_1) | instskip(SKIP_1) | instid1(VALU_DEP_1)
	v_fma_f64 v[60:61], v[2:3], v[216:217], -v[8:9]
	v_mul_f64_e32 v[2:3], v[2:3], v[218:219]
	v_fma_f64 v[62:63], v[4:5], v[216:217], v[2:3]
	ds_load_b128 v[2:5], v78 offset:30720
	s_wait_loadcnt_dscnt 0x100
	v_mul_f64_e32 v[8:9], v[4:5], v[222:223]
	s_delay_alu instid0(VALU_DEP_1) | instskip(SKIP_1) | instid1(VALU_DEP_1)
	v_fma_f64 v[64:65], v[2:3], v[220:221], -v[8:9]
	v_mul_f64_e32 v[2:3], v[2:3], v[222:223]
	v_fma_f64 v[66:67], v[4:5], v[220:221], v[2:3]
	ds_load_b128 v[2:5], v78 offset:43520
	s_wait_loadcnt_dscnt 0x0
	v_mul_f64_e32 v[6:7], v[4:5], v[226:227]
	s_delay_alu instid0(VALU_DEP_1) | instskip(SKIP_1) | instid1(VALU_DEP_1)
	v_fma_f64 v[68:69], v[2:3], v[224:225], -v[6:7]
	v_mul_f64_e32 v[2:3], v[2:3], v[226:227]
	v_fma_f64 v[70:71], v[4:5], v[224:225], v[2:3]
	v_add_nc_u16 v2, v1, 0x1e0
	s_delay_alu instid0(VALU_DEP_1) | instskip(NEXT) | instid1(VALU_DEP_1)
	v_lshrrev_b16 v3, 2, v2
	v_and_b32_e32 v3, 0xffff, v3
	s_delay_alu instid0(VALU_DEP_1) | instskip(NEXT) | instid1(VALU_DEP_1)
	v_mul_u32_u24_e32 v3, 0x147b, v3
	v_lshrrev_b32_e32 v94, 17, v3
	s_delay_alu instid0(VALU_DEP_1) | instskip(NEXT) | instid1(VALU_DEP_1)
	v_mul_lo_u16 v3, 0x64, v94
	v_sub_nc_u16 v95, v2, v3
	s_delay_alu instid0(VALU_DEP_1) | instskip(NEXT) | instid1(VALU_DEP_1)
	v_mul_lo_u16 v2, v95, 48
	v_and_b32_e32 v2, 0xffff, v2
	s_delay_alu instid0(VALU_DEP_1)
	v_add_co_u32 v6, s26, s10, v2
	s_wait_alu 0xf1ff
	v_add_co_ci_u32_e64 v7, null, s11, 0, s26
	ds_load_b128 v[2:5], v78 offset:20480
	s_clause 0x2
	global_load_b128 v[236:239], v[6:7], off offset:1472
	global_load_b128 v[228:231], v[6:7], off offset:1440
	;; [unrolled: 1-line block ×3, first 2 shown]
	s_wait_loadcnt_dscnt 0x100
	v_mul_f64_e32 v[8:9], v[4:5], v[230:231]
	s_delay_alu instid0(VALU_DEP_1) | instskip(SKIP_1) | instid1(VALU_DEP_1)
	v_fma_f64 v[72:73], v[2:3], v[228:229], -v[8:9]
	v_mul_f64_e32 v[2:3], v[2:3], v[230:231]
	v_fma_f64 v[74:75], v[4:5], v[228:229], v[2:3]
	ds_load_b128 v[2:5], v78 offset:33280
	s_wait_loadcnt_dscnt 0x0
	v_mul_f64_e32 v[8:9], v[4:5], v[234:235]
	s_delay_alu instid0(VALU_DEP_1) | instskip(SKIP_1) | instid1(VALU_DEP_1)
	v_fma_f64 v[76:77], v[2:3], v[232:233], -v[8:9]
	v_mul_f64_e32 v[2:3], v[2:3], v[234:235]
	v_fma_f64 v[79:80], v[4:5], v[232:233], v[2:3]
	ds_load_b128 v[2:5], v78 offset:46080
	s_wait_dscnt 0x0
	v_mul_f64_e32 v[6:7], v[4:5], v[238:239]
	s_delay_alu instid0(VALU_DEP_1) | instskip(SKIP_1) | instid1(VALU_DEP_1)
	v_fma_f64 v[81:82], v[2:3], v[236:237], -v[6:7]
	v_mul_f64_e32 v[2:3], v[2:3], v[238:239]
	v_fma_f64 v[83:84], v[4:5], v[236:237], v[2:3]
	v_add_nc_u16 v2, v1, 0x280
	s_delay_alu instid0(VALU_DEP_1) | instskip(NEXT) | instid1(VALU_DEP_1)
	v_lshrrev_b16 v3, 2, v2
	v_and_b32_e32 v3, 0xffff, v3
	s_delay_alu instid0(VALU_DEP_1) | instskip(NEXT) | instid1(VALU_DEP_1)
	v_mul_u32_u24_e32 v3, 0x147b, v3
	v_lshrrev_b32_e32 v15, 17, v3
	s_delay_alu instid0(VALU_DEP_1) | instskip(NEXT) | instid1(VALU_DEP_1)
	v_mul_lo_u16 v3, 0x64, v15
	v_sub_nc_u16 v16, v2, v3
	s_delay_alu instid0(VALU_DEP_1) | instskip(NEXT) | instid1(VALU_DEP_1)
	v_mul_lo_u16 v2, v16, 48
	v_and_b32_e32 v2, 0xffff, v2
	s_delay_alu instid0(VALU_DEP_1)
	v_add_co_u32 v10, s26, s10, v2
	s_wait_alu 0xf1ff
	v_add_co_ci_u32_e64 v11, null, s11, 0, s26
	ds_load_b128 v[2:5], v78 offset:23040
	s_clause 0x2
	global_load_b128 v[240:243], v[10:11], off offset:1440
	global_load_b128 v[248:251], v[10:11], off offset:1456
	;; [unrolled: 1-line block ×3, first 2 shown]
	s_wait_loadcnt_dscnt 0x200
	v_mul_f64_e32 v[6:7], v[4:5], v[242:243]
	s_wait_loadcnt 0x0
	v_mul_f64_e32 v[10:11], v[20:21], v[254:255]
	s_delay_alu instid0(VALU_DEP_2)
	v_fma_f64 v[12:13], v[2:3], v[240:241], -v[6:7]
	v_mul_f64_e32 v[2:3], v[2:3], v[242:243]
	ds_load_b128 v[6:9], v78 offset:35840
	v_fma_f64 v[10:11], v[22:23], v[252:253], v[10:11]
	v_fma_f64 v[2:3], v[4:5], v[240:241], v[2:3]
	s_wait_dscnt 0x0
	v_mul_f64_e32 v[4:5], v[8:9], v[250:251]
	s_delay_alu instid0(VALU_DEP_2) | instskip(NEXT) | instid1(VALU_DEP_2)
	v_add_f64_e64 v[10:11], v[2:3], -v[10:11]
	v_fma_f64 v[4:5], v[6:7], v[248:249], -v[4:5]
	v_mul_f64_e32 v[6:7], v[6:7], v[250:251]
	s_delay_alu instid0(VALU_DEP_1) | instskip(SKIP_1) | instid1(VALU_DEP_1)
	v_fma_f64 v[6:7], v[8:9], v[248:249], v[6:7]
	v_mul_f64_e32 v[8:9], v[22:23], v[254:255]
	v_fma_f64 v[8:9], v[20:21], v[252:253], -v[8:9]
	ds_load_b128 v[20:23], v78
	ds_load_b128 v[28:31], v78 offset:2560
	ds_load_b128 v[32:35], v78 offset:5120
	;; [unrolled: 1-line block ×4, first 2 shown]
	global_wb scope:SCOPE_SE
	s_wait_storecnt_dscnt 0x0
	s_barrier_signal -1
	s_barrier_wait -1
	global_inv scope:SCOPE_SE
	v_add_f64_e64 v[24:25], v[20:21], -v[24:25]
	v_add_f64_e64 v[26:27], v[22:23], -v[26:27]
	s_delay_alu instid0(VALU_DEP_2) | instskip(NEXT) | instid1(VALU_DEP_2)
	v_fma_f64 v[46:47], v[20:21], 2.0, -v[24:25]
	v_fma_f64 v[85:86], v[22:23], 2.0, -v[26:27]
	v_add_f64_e64 v[20:21], v[24:25], -v[87:88]
	v_add_f64_e32 v[22:23], v[26:27], v[89:90]
	s_delay_alu instid0(VALU_DEP_2) | instskip(NEXT) | instid1(VALU_DEP_2)
	v_fma_f64 v[24:25], v[24:25], 2.0, -v[20:21]
	v_fma_f64 v[26:27], v[26:27], 2.0, -v[22:23]
	ds_store_b128 v96, v[20:23] offset:4800
	v_fma_f64 v[22:23], v[44:45], 2.0, -v[87:88]
	v_add_f64_e64 v[20:21], v[46:47], -v[17:18]
	v_add_f64_e64 v[17:18], v[28:29], -v[52:53]
	s_delay_alu instid0(VALU_DEP_3) | instskip(NEXT) | instid1(VALU_DEP_3)
	v_add_f64_e64 v[22:23], v[85:86], -v[22:23]
	v_fma_f64 v[44:45], v[46:47], 2.0, -v[20:21]
	s_delay_alu instid0(VALU_DEP_2)
	v_fma_f64 v[46:47], v[85:86], 2.0, -v[22:23]
	ds_store_b128 v96, v[20:23] offset:3200
	ds_store_b128 v96, v[24:27] offset:1600
	ds_store_b128 v96, v[44:47]
	v_add_f64_e64 v[44:45], v[30:31], -v[54:55]
	v_fma_f64 v[24:25], v[28:29], 2.0, -v[17:18]
	v_add_f64_e64 v[28:29], v[48:49], -v[56:57]
	scratch_store_b32 off, v0, off offset:752 ; 4-byte Folded Spill
	v_fma_f64 v[26:27], v[30:31], 2.0, -v[44:45]
	v_add_f64_e64 v[30:31], v[50:51], -v[58:59]
	v_fma_f64 v[19:20], v[48:49], 2.0, -v[28:29]
	s_delay_alu instid0(VALU_DEP_2) | instskip(NEXT) | instid1(VALU_DEP_2)
	v_fma_f64 v[22:23], v[50:51], 2.0, -v[30:31]
	v_add_f64_e64 v[20:21], v[24:25], -v[19:20]
	s_delay_alu instid0(VALU_DEP_2) | instskip(NEXT) | instid1(VALU_DEP_2)
	v_add_f64_e64 v[22:23], v[26:27], -v[22:23]
	v_fma_f64 v[24:25], v[24:25], 2.0, -v[20:21]
	s_delay_alu instid0(VALU_DEP_2) | instskip(SKIP_3) | instid1(VALU_DEP_2)
	v_fma_f64 v[26:27], v[26:27], 2.0, -v[22:23]
	ds_store_b128 v0, v[24:27]
	v_add_f64_e64 v[24:25], v[17:18], -v[30:31]
	v_add_f64_e32 v[26:27], v[44:45], v[28:29]
	v_fma_f64 v[28:29], v[17:18], 2.0, -v[24:25]
	s_delay_alu instid0(VALU_DEP_2)
	v_fma_f64 v[30:31], v[44:45], 2.0, -v[26:27]
	v_add_f64_e64 v[17:18], v[32:33], -v[64:65]
	ds_store_b128 v0, v[28:31] offset:1600
	ds_store_b128 v0, v[20:23] offset:3200
	;; [unrolled: 1-line block ×3, first 2 shown]
	v_add_f64_e64 v[30:31], v[34:35], -v[66:67]
	v_fma_f64 v[24:25], v[32:33], 2.0, -v[17:18]
	v_add_f64_e64 v[28:29], v[60:61], -v[68:69]
	v_add_f64_e64 v[32:33], v[62:63], -v[70:71]
	v_mad_u16 v0, 0x190, v92, v93
	s_delay_alu instid0(VALU_DEP_1) | instskip(NEXT) | instid1(VALU_DEP_1)
	v_and_b32_e32 v0, 0xffff, v0
	v_lshlrev_b32_e32 v0, 4, v0
	scratch_store_b32 off, v0, off offset:744 ; 4-byte Folded Spill
	v_fma_f64 v[26:27], v[34:35], 2.0, -v[30:31]
	v_fma_f64 v[19:20], v[60:61], 2.0, -v[28:29]
	;; [unrolled: 1-line block ×3, first 2 shown]
	s_delay_alu instid0(VALU_DEP_2) | instskip(NEXT) | instid1(VALU_DEP_2)
	v_add_f64_e64 v[20:21], v[24:25], -v[19:20]
	v_add_f64_e64 v[22:23], v[26:27], -v[22:23]
	s_delay_alu instid0(VALU_DEP_2) | instskip(NEXT) | instid1(VALU_DEP_2)
	v_fma_f64 v[24:25], v[24:25], 2.0, -v[20:21]
	v_fma_f64 v[26:27], v[26:27], 2.0, -v[22:23]
	ds_store_b128 v0, v[24:27]
	v_add_f64_e64 v[24:25], v[17:18], -v[32:33]
	v_add_f64_e32 v[26:27], v[30:31], v[28:29]
	v_add_f64_e64 v[32:33], v[74:75], -v[83:84]
	s_delay_alu instid0(VALU_DEP_3) | instskip(NEXT) | instid1(VALU_DEP_3)
	v_fma_f64 v[28:29], v[17:18], 2.0, -v[24:25]
	v_fma_f64 v[30:31], v[30:31], 2.0, -v[26:27]
	v_add_f64_e64 v[17:18], v[36:37], -v[76:77]
	ds_store_b128 v0, v[28:31] offset:1600
	v_add_f64_e64 v[30:31], v[38:39], -v[79:80]
	v_add_f64_e64 v[28:29], v[72:73], -v[81:82]
	ds_store_b128 v0, v[20:23] offset:3200
	ds_store_b128 v0, v[24:27] offset:4800
	v_fma_f64 v[24:25], v[36:37], 2.0, -v[17:18]
	v_fma_f64 v[22:23], v[74:75], 2.0, -v[32:33]
	v_mad_u16 v0, 0x190, v94, v95
	s_delay_alu instid0(VALU_DEP_1) | instskip(NEXT) | instid1(VALU_DEP_1)
	v_and_b32_e32 v0, 0xffff, v0
	v_lshlrev_b32_e32 v0, 4, v0
	v_fma_f64 v[26:27], v[38:39], 2.0, -v[30:31]
	v_fma_f64 v[19:20], v[72:73], 2.0, -v[28:29]
	s_delay_alu instid0(VALU_DEP_2) | instskip(NEXT) | instid1(VALU_DEP_2)
	v_add_f64_e64 v[22:23], v[26:27], -v[22:23]
	v_add_f64_e64 v[20:21], v[24:25], -v[19:20]
	s_delay_alu instid0(VALU_DEP_2) | instskip(NEXT) | instid1(VALU_DEP_2)
	v_fma_f64 v[26:27], v[26:27], 2.0, -v[22:23]
	v_fma_f64 v[24:25], v[24:25], 2.0, -v[20:21]
	ds_store_b128 v0, v[24:27]
	v_add_f64_e64 v[24:25], v[17:18], -v[32:33]
	v_add_f64_e32 v[26:27], v[30:31], v[28:29]
	s_delay_alu instid0(VALU_DEP_2) | instskip(NEXT) | instid1(VALU_DEP_2)
	v_fma_f64 v[28:29], v[17:18], 2.0, -v[24:25]
	v_fma_f64 v[30:31], v[30:31], 2.0, -v[26:27]
	ds_store_b128 v0, v[28:31] offset:1600
	ds_store_b128 v0, v[20:23] offset:3200
	;; [unrolled: 1-line block ×3, first 2 shown]
	v_add_f64_e64 v[17:18], v[40:41], -v[4:5]
	v_add_f64_e64 v[19:20], v[42:43], -v[6:7]
	;; [unrolled: 1-line block ×3, first 2 shown]
	v_fma_f64 v[8:9], v[2:3], 2.0, -v[10:11]
	scratch_store_b32 off, v0, off offset:760 ; 4-byte Folded Spill
	v_mad_u16 v0, 0x190, v15, v16
	s_delay_alu instid0(VALU_DEP_1) | instskip(NEXT) | instid1(VALU_DEP_1)
	v_and_b32_e32 v0, 0xffff, v0
	v_lshlrev_b32_e32 v0, 4, v0
	scratch_store_b32 off, v0, off offset:756 ; 4-byte Folded Spill
	v_fma_f64 v[6:7], v[40:41], 2.0, -v[17:18]
	v_fma_f64 v[21:22], v[42:43], 2.0, -v[19:20]
	;; [unrolled: 1-line block ×3, first 2 shown]
	s_delay_alu instid0(VALU_DEP_1) | instskip(NEXT) | instid1(VALU_DEP_3)
	v_add_f64_e64 v[2:3], v[6:7], -v[4:5]
	v_add_f64_e64 v[4:5], v[21:22], -v[8:9]
	s_delay_alu instid0(VALU_DEP_2) | instskip(NEXT) | instid1(VALU_DEP_2)
	v_fma_f64 v[6:7], v[6:7], 2.0, -v[2:3]
	v_fma_f64 v[8:9], v[21:22], 2.0, -v[4:5]
	ds_store_b128 v0, v[6:9]
	v_add_f64_e64 v[6:7], v[17:18], -v[10:11]
	v_add_f64_e32 v[8:9], v[19:20], v[23:24]
	s_delay_alu instid0(VALU_DEP_2) | instskip(NEXT) | instid1(VALU_DEP_2)
	v_fma_f64 v[10:11], v[17:18], 2.0, -v[6:7]
	v_fma_f64 v[12:13], v[19:20], 2.0, -v[8:9]
	ds_store_b128 v0, v[10:13] offset:1600
	ds_store_b128 v0, v[2:5] offset:3200
	;; [unrolled: 1-line block ×3, first 2 shown]
	v_mov_b32_e32 v0, v192
	global_wb scope:SCOPE_SE
	s_wait_storecnt_dscnt 0x0
	s_barrier_signal -1
	s_barrier_wait -1
	global_inv scope:SCOPE_SE
	v_mad_co_u64_u32 v[6:7], null, v0, 48, s[10:11]
	ds_load_b128 v[2:5], v78 offset:12800
	scratch_store_b32 off, v0, off offset:336 ; 4-byte Folded Spill
	v_add_nc_u32_e32 v0, 0xffffffb0, v0
	s_clause 0x6
	global_load_b128 v[244:247], v[6:7], off offset:6240
	global_load_b128 v[208:211], v[6:7], off offset:6256
	;; [unrolled: 1-line block ×7, first 2 shown]
	s_wait_alu 0xfffd
	v_cndmask_b32_e32 v0, v0, v14, vcc_lo
	s_clause 0x4
	global_load_b128 v[176:179], v[6:7], off offset:10096
	global_load_b128 v[172:175], v[6:7], off offset:10112
	;; [unrolled: 1-line block ×5, first 2 shown]
	s_wait_loadcnt_dscnt 0xb00
	v_mul_f64_e32 v[8:9], v[4:5], v[246:247]
	s_delay_alu instid0(VALU_DEP_1) | instskip(SKIP_1) | instid1(VALU_DEP_1)
	v_fma_f64 v[8:9], v[2:3], v[244:245], -v[8:9]
	v_mul_f64_e32 v[2:3], v[2:3], v[246:247]
	v_fma_f64 v[10:11], v[4:5], v[244:245], v[2:3]
	ds_load_b128 v[2:5], v78 offset:25600
	s_wait_loadcnt_dscnt 0xa00
	v_mul_f64_e32 v[12:13], v[4:5], v[210:211]
	s_delay_alu instid0(VALU_DEP_1) | instskip(SKIP_1) | instid1(VALU_DEP_1)
	v_fma_f64 v[12:13], v[2:3], v[208:209], -v[12:13]
	v_mul_f64_e32 v[2:3], v[2:3], v[210:211]
	v_fma_f64 v[15:16], v[4:5], v[208:209], v[2:3]
	ds_load_b128 v[2:5], v78 offset:38400
	;; [unrolled: 7-line block ×3, first 2 shown]
	s_wait_loadcnt_dscnt 0x700
	v_mul_f64_e32 v[21:22], v[4:5], v[194:195]
	v_add_f64_e64 v[19:20], v[10:11], -v[19:20]
	s_delay_alu instid0(VALU_DEP_2) | instskip(SKIP_1) | instid1(VALU_DEP_1)
	v_fma_f64 v[21:22], v[2:3], v[192:193], -v[21:22]
	v_mul_f64_e32 v[2:3], v[2:3], v[194:195]
	v_fma_f64 v[23:24], v[4:5], v[192:193], v[2:3]
	ds_load_b128 v[2:5], v78 offset:28160
	s_wait_loadcnt_dscnt 0x600
	v_mul_f64_e32 v[25:26], v[4:5], v[198:199]
	s_delay_alu instid0(VALU_DEP_1) | instskip(SKIP_1) | instid1(VALU_DEP_1)
	v_fma_f64 v[25:26], v[2:3], v[196:197], -v[25:26]
	v_mul_f64_e32 v[2:3], v[2:3], v[198:199]
	v_fma_f64 v[27:28], v[4:5], v[196:197], v[2:3]
	ds_load_b128 v[2:5], v78 offset:40960
	s_wait_loadcnt_dscnt 0x500
	v_mul_f64_e32 v[29:30], v[4:5], v[202:203]
	s_delay_alu instid0(VALU_DEP_1) | instskip(SKIP_1) | instid1(VALU_DEP_2)
	v_fma_f64 v[29:30], v[2:3], v[200:201], -v[29:30]
	v_mul_f64_e32 v[2:3], v[2:3], v[202:203]
	v_add_f64_e64 v[29:30], v[21:22], -v[29:30]
	s_delay_alu instid0(VALU_DEP_2) | instskip(SKIP_2) | instid1(VALU_DEP_2)
	v_fma_f64 v[31:32], v[4:5], v[200:201], v[2:3]
	v_mul_i32_i24_e32 v2, 48, v0
	v_mul_hi_i32_i24_e32 v3, 48, v0
	v_add_co_u32 v33, vcc_lo, s10, v2
	s_wait_alu 0xfffd
	s_delay_alu instid0(VALU_DEP_2)
	v_add_co_ci_u32_e32 v34, vcc_lo, s11, v3, vcc_lo
	ds_load_b128 v[2:5], v78 offset:17920
	v_cmp_lt_u16_e32 vcc_lo, 0x4f, v1
	s_clause 0x2
	global_load_b128 v[144:147], v[33:34], off offset:6240
	global_load_b128 v[184:187], v[33:34], off offset:6256
	;; [unrolled: 1-line block ×3, first 2 shown]
	s_wait_alu 0xfffd
	v_cndmask_b32_e64 v1, 0, 0x640, vcc_lo
	s_delay_alu instid0(VALU_DEP_1) | instskip(SKIP_3) | instid1(VALU_DEP_1)
	v_add_lshl_u32 v0, v0, v1, 4
	v_add_f64_e64 v[31:32], v[23:24], -v[31:32]
	s_wait_loadcnt_dscnt 0x200
	v_mul_f64_e32 v[35:36], v[4:5], v[146:147]
	v_fma_f64 v[35:36], v[2:3], v[144:145], -v[35:36]
	v_mul_f64_e32 v[2:3], v[2:3], v[146:147]
	s_delay_alu instid0(VALU_DEP_1) | instskip(SKIP_3) | instid1(VALU_DEP_1)
	v_fma_f64 v[37:38], v[4:5], v[144:145], v[2:3]
	ds_load_b128 v[2:5], v78 offset:30720
	s_wait_loadcnt_dscnt 0x100
	v_mul_f64_e32 v[39:40], v[4:5], v[186:187]
	v_fma_f64 v[39:40], v[2:3], v[184:185], -v[39:40]
	v_mul_f64_e32 v[2:3], v[2:3], v[186:187]
	s_delay_alu instid0(VALU_DEP_1) | instskip(SKIP_3) | instid1(VALU_DEP_1)
	v_fma_f64 v[41:42], v[4:5], v[184:185], v[2:3]
	ds_load_b128 v[2:5], v78 offset:43520
	;; [unrolled: 7-line block ×3, first 2 shown]
	s_wait_dscnt 0x0
	v_mul_f64_e32 v[45:46], v[4:5], v[182:183]
	v_fma_f64 v[45:46], v[2:3], v[180:181], -v[45:46]
	v_mul_f64_e32 v[2:3], v[2:3], v[182:183]
	s_delay_alu instid0(VALU_DEP_1) | instskip(SKIP_3) | instid1(VALU_DEP_1)
	v_fma_f64 v[47:48], v[4:5], v[180:181], v[2:3]
	ds_load_b128 v[2:5], v78 offset:33280
	s_wait_dscnt 0x0
	v_mul_f64_e32 v[49:50], v[4:5], v[178:179]
	v_fma_f64 v[49:50], v[2:3], v[176:177], -v[49:50]
	v_mul_f64_e32 v[2:3], v[2:3], v[178:179]
	s_delay_alu instid0(VALU_DEP_1) | instskip(SKIP_3) | instid1(VALU_DEP_1)
	v_fma_f64 v[51:52], v[4:5], v[176:177], v[2:3]
	ds_load_b128 v[2:5], v78 offset:46080
	;; [unrolled: 7-line block ×5, first 2 shown]
	s_wait_dscnt 0x0
	v_mul_f64_e32 v[6:7], v[4:5], v[136:137]
	v_fma_f64 v[65:66], v[2:3], v[134:135], -v[6:7]
	v_mul_f64_e32 v[2:3], v[2:3], v[136:137]
	s_delay_alu instid0(VALU_DEP_1)
	v_fma_f64 v[67:68], v[4:5], v[134:135], v[2:3]
	ds_load_b128 v[2:5], v78
	ds_load_b128 v[156:159], v78 offset:2560
	ds_load_b128 v[160:163], v78 offset:5120
	;; [unrolled: 1-line block ×4, first 2 shown]
	global_wb scope:SCOPE_SE
	s_wait_storecnt_dscnt 0x0
	s_barrier_signal -1
	s_barrier_wait -1
	global_inv scope:SCOPE_SE
	v_add_f64_e64 v[6:7], v[2:3], -v[12:13]
	v_add_f64_e64 v[12:13], v[4:5], -v[15:16]
	;; [unrolled: 1-line block ×3, first 2 shown]
	s_delay_alu instid0(VALU_DEP_3) | instskip(NEXT) | instid1(VALU_DEP_3)
	v_fma_f64 v[14:15], v[2:3], 2.0, -v[6:7]
	v_fma_f64 v[69:70], v[4:5], 2.0, -v[12:13]
	v_add_f64_e64 v[2:3], v[6:7], -v[19:20]
	s_delay_alu instid0(VALU_DEP_4) | instskip(NEXT) | instid1(VALU_DEP_2)
	v_add_f64_e32 v[4:5], v[12:13], v[16:17]
	v_fma_f64 v[152:153], v[6:7], 2.0, -v[2:3]
	s_delay_alu instid0(VALU_DEP_2)
	v_fma_f64 v[154:155], v[12:13], 2.0, -v[4:5]
	v_add_f64_e64 v[6:7], v[156:157], -v[25:26]
	v_add_f64_e64 v[12:13], v[158:159], -v[27:28]
	ds_store_b128 v78, v[2:5] offset:19200
	v_add_f64_e64 v[2:3], v[6:7], -v[31:32]
	v_add_f64_e32 v[4:5], v[12:13], v[29:30]
	v_fma_f64 v[25:26], v[156:157], 2.0, -v[6:7]
	v_fma_f64 v[27:28], v[158:159], 2.0, -v[12:13]
	s_delay_alu instid0(VALU_DEP_4) | instskip(NEXT) | instid1(VALU_DEP_4)
	v_fma_f64 v[156:157], v[6:7], 2.0, -v[2:3]
	v_fma_f64 v[158:159], v[12:13], 2.0, -v[4:5]
	ds_store_b128 v78, v[2:5] offset:21760
	ds_store_b128 v78, v[152:155] offset:6400
	;; [unrolled: 1-line block ×3, first 2 shown]
	v_fma_f64 v[2:3], v[8:9], 2.0, -v[16:17]
	v_fma_f64 v[4:5], v[10:11], 2.0, -v[19:20]
	v_add_f64_e64 v[6:7], v[160:161], -v[39:40]
	v_add_f64_e64 v[8:9], v[162:163], -v[41:42]
	;; [unrolled: 1-line block ×6, first 2 shown]
	v_fma_f64 v[10:11], v[160:161], 2.0, -v[6:7]
	v_fma_f64 v[12:13], v[162:163], 2.0, -v[8:9]
	s_delay_alu instid0(VALU_DEP_4) | instskip(NEXT) | instid1(VALU_DEP_4)
	v_fma_f64 v[152:153], v[14:15], 2.0, -v[2:3]
	v_fma_f64 v[154:155], v[69:70], 2.0, -v[4:5]
	ds_store_b128 v78, v[2:5] offset:12800
	v_fma_f64 v[2:3], v[21:22], 2.0, -v[29:30]
	v_fma_f64 v[4:5], v[23:24], 2.0, -v[31:32]
	v_add_f64_e64 v[14:15], v[35:36], -v[33:34]
	v_fma_f64 v[23:24], v[170:171], 2.0, -v[19:20]
	s_delay_alu instid0(VALU_DEP_4) | instskip(NEXT) | instid1(VALU_DEP_4)
	v_add_f64_e64 v[2:3], v[25:26], -v[2:3]
	v_add_f64_e64 v[4:5], v[27:28], -v[4:5]
	s_delay_alu instid0(VALU_DEP_2) | instskip(NEXT) | instid1(VALU_DEP_2)
	v_fma_f64 v[156:157], v[25:26], 2.0, -v[2:3]
	v_fma_f64 v[158:159], v[27:28], 2.0, -v[4:5]
	ds_store_b128 v78, v[2:5] offset:15360
	ds_store_b128 v78, v[152:155]
	ds_store_b128 v78, v[156:159] offset:2560
	v_fma_f64 v[2:3], v[35:36], 2.0, -v[14:15]
	v_fma_f64 v[4:5], v[37:38], 2.0, -v[16:17]
	scratch_store_b32 off, v0, off offset:580 ; 4-byte Folded Spill
	v_add_f64_e64 v[25:26], v[57:58], -v[65:66]
	v_add_f64_e64 v[27:28], v[59:60], -v[67:68]
	;; [unrolled: 1-line block ×4, first 2 shown]
	s_delay_alu instid0(VALU_DEP_2) | instskip(NEXT) | instid1(VALU_DEP_2)
	v_fma_f64 v[152:153], v[10:11], 2.0, -v[2:3]
	v_fma_f64 v[154:155], v[12:13], 2.0, -v[4:5]
	v_add_f64_e64 v[11:12], v[166:167], -v[51:52]
	ds_store_b128 v0, v[152:155]
	v_add_f64_e64 v[152:153], v[6:7], -v[16:17]
	v_add_f64_e32 v[154:155], v[8:9], v[14:15]
	v_add_f64_e64 v[13:14], v[45:46], -v[53:54]
	v_add_f64_e64 v[15:16], v[47:48], -v[55:56]
	;; [unrolled: 1-line block ×3, first 2 shown]
	v_fma_f64 v[156:157], v[6:7], 2.0, -v[152:153]
	v_fma_f64 v[158:159], v[8:9], 2.0, -v[154:155]
	v_add_f64_e64 v[9:10], v[164:165], -v[49:50]
	v_fma_f64 v[7:8], v[166:167], 2.0, -v[11:12]
	v_fma_f64 v[21:22], v[168:169], 2.0, -v[17:18]
	ds_store_b128 v0, v[156:159] offset:6400
	ds_store_b128 v0, v[2:5] offset:12800
	;; [unrolled: 1-line block ×3, first 2 shown]
	v_fma_f64 v[5:6], v[164:165], 2.0, -v[9:10]
	v_fma_f64 v[0:1], v[45:46], 2.0, -v[13:14]
	;; [unrolled: 1-line block ×3, first 2 shown]
	s_delay_alu instid0(VALU_DEP_2) | instskip(NEXT) | instid1(VALU_DEP_2)
	v_add_f64_e64 v[1:2], v[5:6], -v[0:1]
	v_add_f64_e64 v[3:4], v[7:8], -v[3:4]
	s_delay_alu instid0(VALU_DEP_2) | instskip(NEXT) | instid1(VALU_DEP_2)
	v_fma_f64 v[5:6], v[5:6], 2.0, -v[1:2]
	v_fma_f64 v[7:8], v[7:8], 2.0, -v[3:4]
	ds_store_b128 v78, v[5:8] offset:26880
	v_fma_f64 v[5:6], v[57:58], 2.0, -v[25:26]
	v_fma_f64 v[7:8], v[59:60], 2.0, -v[27:28]
	s_delay_alu instid0(VALU_DEP_2) | instskip(NEXT) | instid1(VALU_DEP_2)
	v_add_f64_e64 v[5:6], v[21:22], -v[5:6]
	v_add_f64_e64 v[7:8], v[23:24], -v[7:8]
	s_delay_alu instid0(VALU_DEP_2) | instskip(NEXT) | instid1(VALU_DEP_2)
	v_fma_f64 v[152:153], v[21:22], 2.0, -v[5:6]
	v_fma_f64 v[154:155], v[23:24], 2.0, -v[7:8]
	ds_store_b128 v78, v[152:155] offset:29440
	v_add_f64_e64 v[152:153], v[9:10], -v[15:16]
	v_add_f64_e32 v[154:155], v[11:12], v[13:14]
	s_delay_alu instid0(VALU_DEP_2) | instskip(NEXT) | instid1(VALU_DEP_2)
	v_fma_f64 v[156:157], v[9:10], 2.0, -v[152:153]
	v_fma_f64 v[158:159], v[11:12], 2.0, -v[154:155]
	ds_store_b128 v78, v[156:159] offset:33280
	v_add_f64_e64 v[156:157], v[17:18], -v[27:28]
	v_add_f64_e32 v[158:159], v[19:20], v[25:26]
	s_delay_alu instid0(VALU_DEP_2) | instskip(NEXT) | instid1(VALU_DEP_2)
	v_fma_f64 v[160:161], v[17:18], 2.0, -v[156:157]
	v_fma_f64 v[162:163], v[19:20], 2.0, -v[158:159]
	ds_store_b128 v78, v[160:163] offset:35840
	ds_store_b128 v78, v[1:4] offset:39680
	;; [unrolled: 1-line block ×5, first 2 shown]
	global_wb scope:SCOPE_SE
	s_wait_storecnt_dscnt 0x0
	s_barrier_signal -1
	s_barrier_wait -1
	global_inv scope:SCOPE_SE
	global_load_b128 v[7:10], v78, s[10:11] offset:25440
	ds_load_b128 v[1:4], v78 offset:25600
	s_clause 0x7
	global_load_b128 v[11:14], v78, s[10:11] offset:30560
	global_load_b128 v[15:18], v78, s[10:11] offset:33120
	;; [unrolled: 1-line block ×8, first 2 shown]
	s_wait_loadcnt_dscnt 0x800
	v_mul_f64_e32 v[5:6], v[3:4], v[9:10]
	scratch_store_b128 off, v[7:10], off offset:648 ; 16-byte Folded Spill
	s_wait_loadcnt 0x7
	scratch_store_b128 off, v[11:14], off offset:600 ; 16-byte Folded Spill
	s_wait_loadcnt 0x6
	;; [unrolled: 2-line block ×3, first 2 shown]
	scratch_store_b128 off, v[19:22], off offset:632 ; 16-byte Folded Spill
	v_fma_f64 v[72:73], v[1:2], v[7:8], -v[5:6]
	v_mul_f64_e32 v[0:1], v[1:2], v[9:10]
	s_delay_alu instid0(VALU_DEP_1)
	v_fma_f64 v[79:80], v[3:4], v[7:8], v[0:1]
	global_load_b128 v[7:10], v78, s[10:11] offset:28000
	ds_load_b128 v[1:4], v78 offset:28160
	s_wait_loadcnt_dscnt 0x0
	v_mul_f64_e32 v[5:6], v[3:4], v[9:10]
	scratch_store_b128 off, v[7:10], off offset:584 ; 16-byte Folded Spill
	v_fma_f64 v[5:6], v[1:2], v[7:8], -v[5:6]
	v_mul_f64_e32 v[0:1], v[1:2], v[9:10]
	s_delay_alu instid0(VALU_DEP_1) | instskip(SKIP_3) | instid1(VALU_DEP_1)
	v_fma_f64 v[7:8], v[3:4], v[7:8], v[0:1]
	ds_load_b128 v[1:4], v78 offset:30720
	s_wait_dscnt 0x0
	v_mul_f64_e32 v[9:10], v[3:4], v[13:14]
	v_fma_f64 v[9:10], v[1:2], v[11:12], -v[9:10]
	v_mul_f64_e32 v[0:1], v[1:2], v[13:14]
	s_delay_alu instid0(VALU_DEP_1) | instskip(SKIP_3) | instid1(VALU_DEP_1)
	v_fma_f64 v[11:12], v[3:4], v[11:12], v[0:1]
	ds_load_b128 v[1:4], v78 offset:33280
	s_wait_dscnt 0x0
	v_mul_f64_e32 v[13:14], v[3:4], v[17:18]
	;; [unrolled: 7-line block ×8, first 2 shown]
	v_fma_f64 v[85:86], v[1:2], v[152:153], -v[23:24]
	v_mul_f64_e32 v[0:1], v[1:2], v[154:155]
	s_delay_alu instid0(VALU_DEP_1) | instskip(SKIP_4) | instid1(VALU_DEP_2)
	v_fma_f64 v[87:88], v[3:4], v[152:153], v[0:1]
	ds_load_b128 v[1:4], v78 offset:2560
	s_wait_dscnt 0x0
	v_add_f64_e64 v[36:37], v[1:2], -v[5:6]
	v_add_f64_e64 v[38:39], v[3:4], -v[7:8]
	v_fma_f64 v[74:75], v[1:2], 2.0, -v[36:37]
	s_delay_alu instid0(VALU_DEP_2) | instskip(SKIP_4) | instid1(VALU_DEP_2)
	v_fma_f64 v[76:77], v[3:4], 2.0, -v[38:39]
	ds_load_b128 v[0:3], v78 offset:5120
	s_wait_dscnt 0x0
	v_add_f64_e64 v[32:33], v[0:1], -v[9:10]
	v_add_f64_e64 v[34:35], v[2:3], -v[11:12]
	v_fma_f64 v[68:69], v[0:1], 2.0, -v[32:33]
	s_delay_alu instid0(VALU_DEP_2) | instskip(SKIP_4) | instid1(VALU_DEP_2)
	v_fma_f64 v[70:71], v[2:3], 2.0, -v[34:35]
	;; [unrolled: 7-line block ×9, first 2 shown]
	ds_load_b128 v[0:3], v78
	s_wait_dscnt 0x0
	v_add_f64_e64 v[90:91], v[0:1], -v[72:73]
	v_add_f64_e64 v[92:93], v[2:3], -v[79:80]
	v_fma_f64 v[0:1], v[0:1], 2.0, -v[90:91]
	s_delay_alu instid0(VALU_DEP_2)
	v_fma_f64 v[2:3], v[2:3], 2.0, -v[92:93]
	ds_store_b128 v78, v[36:39] offset:28160
	ds_store_b128 v78, v[32:35] offset:30720
	;; [unrolled: 1-line block ×19, first 2 shown]
	ds_store_b128 v78, v[0:3]
	global_wb scope:SCOPE_SE
	s_wait_storecnt_dscnt 0x0
	s_barrier_signal -1
	s_barrier_wait -1
	global_inv scope:SCOPE_SE
	global_load_b128 v[5:8], v78, s[8:9] offset:51200
	ds_load_b128 v[1:4], v78
	ds_load_b128 v[56:59], v78 offset:46080
	s_add_nc_u64 s[8:9], s[8:9], 0xc800
	ds_load_b128 v[14:17], v78 offset:10240
	ds_load_b128 v[90:93], v78 offset:12800
	global_load_b128 v[74:77], v78, s[8:9] offset:12800
	ds_load_b128 v[20:23], v78 offset:15360
	ds_load_b128 v[26:29], v78 offset:20480
	;; [unrolled: 1-line block ×8, first 2 shown]
	s_wait_loadcnt_dscnt 0x10b
	v_mul_f64_e32 v[9:10], v[3:4], v[7:8]
	v_mul_f64_e32 v[7:8], v[1:2], v[7:8]
	s_delay_alu instid0(VALU_DEP_2) | instskip(NEXT) | instid1(VALU_DEP_2)
	v_fma_f64 v[98:99], v[1:2], v[5:6], -v[9:10]
	v_fma_f64 v[100:101], v[3:4], v[5:6], v[7:8]
	global_load_b128 v[4:7], v78, s[8:9] offset:5120
	ds_load_b128 v[8:11], v78 offset:5120
	s_wait_loadcnt_dscnt 0x0
	v_mul_f64_e32 v[2:3], v[8:9], v[6:7]
	v_mul_f64_e32 v[0:1], v[10:11], v[6:7]
	s_delay_alu instid0(VALU_DEP_2)
	v_fma_f64 v[96:97], v[10:11], v[4:5], v[2:3]
	global_load_b128 v[10:13], v78, s[8:9] offset:10240
	v_fma_f64 v[94:95], v[8:9], v[4:5], -v[0:1]
	s_wait_loadcnt 0x0
	v_mul_f64_e32 v[2:3], v[14:15], v[12:13]
	v_mul_f64_e32 v[0:1], v[16:17], v[12:13]
	s_delay_alu instid0(VALU_DEP_2)
	v_fma_f64 v[85:86], v[16:17], v[10:11], v[2:3]
	global_load_b128 v[16:19], v78, s[8:9] offset:15360
	v_fma_f64 v[83:84], v[14:15], v[10:11], -v[0:1]
	global_load_b128 v[8:11], v78, s[8:9] offset:33280
	s_wait_loadcnt 0x1
	v_mul_f64_e32 v[2:3], v[20:21], v[18:19]
	v_mul_f64_e32 v[0:1], v[22:23], v[18:19]
	s_delay_alu instid0(VALU_DEP_2)
	v_fma_f64 v[81:82], v[22:23], v[16:17], v[2:3]
	global_load_b128 v[22:25], v78, s[8:9] offset:20480
	v_fma_f64 v[79:80], v[20:21], v[16:17], -v[0:1]
	s_wait_loadcnt 0x0
	v_mul_f64_e32 v[0:1], v[28:29], v[24:25]
	v_mul_f64_e32 v[2:3], v[26:27], v[24:25]
	s_delay_alu instid0(VALU_DEP_2) | instskip(NEXT) | instid1(VALU_DEP_2)
	v_fma_f64 v[24:25], v[26:27], v[22:23], -v[0:1]
	v_fma_f64 v[26:27], v[28:29], v[22:23], v[2:3]
	global_load_b128 v[28:31], v78, s[8:9] offset:25600
	s_wait_loadcnt 0x0
	v_mul_f64_e32 v[0:1], v[34:35], v[30:31]
	v_mul_f64_e32 v[2:3], v[32:33], v[30:31]
	s_delay_alu instid0(VALU_DEP_2) | instskip(NEXT) | instid1(VALU_DEP_2)
	v_fma_f64 v[30:31], v[32:33], v[28:29], -v[0:1]
	v_fma_f64 v[32:33], v[34:35], v[28:29], v[2:3]
	global_load_b128 v[34:37], v78, s[8:9] offset:30720
	;; [unrolled: 7-line block ×7, first 2 shown]
	s_wait_loadcnt 0x0
	v_mul_f64_e32 v[0:1], v[70:71], v[66:67]
	v_mul_f64_e32 v[2:3], v[68:69], v[66:67]
	s_delay_alu instid0(VALU_DEP_2) | instskip(NEXT) | instid1(VALU_DEP_2)
	v_fma_f64 v[66:67], v[68:69], v[64:65], -v[0:1]
	v_fma_f64 v[68:69], v[70:71], v[64:65], v[2:3]
	v_mul_f64_e32 v[0:1], v[92:93], v[76:77]
	v_mul_f64_e32 v[2:3], v[90:91], v[76:77]
	ds_load_b128 v[70:73], v78 offset:17920
	v_fma_f64 v[90:91], v[90:91], v[74:75], -v[0:1]
	v_fma_f64 v[92:93], v[92:93], v[74:75], v[2:3]
	global_load_b128 v[74:77], v78, s[8:9] offset:17920
	s_wait_loadcnt_dscnt 0x0
	v_mul_f64_e32 v[0:1], v[72:73], v[76:77]
	v_mul_f64_e32 v[2:3], v[70:71], v[76:77]
	s_delay_alu instid0(VALU_DEP_2) | instskip(NEXT) | instid1(VALU_DEP_2)
	v_fma_f64 v[70:71], v[70:71], v[74:75], -v[0:1]
	v_fma_f64 v[72:73], v[72:73], v[74:75], v[2:3]
	global_load_b128 v[74:77], v78, s[8:9] offset:23040
	ds_load_b128 v[0:3], v78 offset:23040
	s_wait_loadcnt_dscnt 0x0
	v_mul_f64_e32 v[4:5], v[2:3], v[76:77]
	v_mul_f64_e32 v[6:7], v[0:1], v[76:77]
	s_delay_alu instid0(VALU_DEP_2) | instskip(NEXT) | instid1(VALU_DEP_2)
	v_fma_f64 v[16:17], v[0:1], v[74:75], -v[4:5]
	v_fma_f64 v[18:19], v[2:3], v[74:75], v[6:7]
	global_load_b128 v[74:77], v78, s[8:9] offset:28160
	ds_load_b128 v[0:3], v78 offset:28160
	s_wait_loadcnt_dscnt 0x0
	v_mul_f64_e32 v[4:5], v[2:3], v[76:77]
	v_mul_f64_e32 v[6:7], v[0:1], v[76:77]
	s_delay_alu instid0(VALU_DEP_2) | instskip(NEXT) | instid1(VALU_DEP_2)
	v_fma_f64 v[12:13], v[0:1], v[74:75], -v[4:5]
	v_fma_f64 v[14:15], v[2:3], v[74:75], v[6:7]
	ds_load_b128 v[74:77], v78 offset:33280
	s_wait_dscnt 0x0
	v_mul_f64_e32 v[0:1], v[76:77], v[10:11]
	v_mul_f64_e32 v[2:3], v[74:75], v[10:11]
	s_delay_alu instid0(VALU_DEP_2) | instskip(NEXT) | instid1(VALU_DEP_2)
	v_fma_f64 v[74:75], v[74:75], v[8:9], -v[0:1]
	v_fma_f64 v[76:77], v[76:77], v[8:9], v[2:3]
	global_load_b128 v[8:11], v78, s[8:9] offset:38400
	ds_load_b128 v[0:3], v78 offset:38400
	s_wait_loadcnt_dscnt 0x0
	v_mul_f64_e32 v[4:5], v[2:3], v[10:11]
	v_mul_f64_e32 v[6:7], v[0:1], v[10:11]
	s_delay_alu instid0(VALU_DEP_2) | instskip(NEXT) | instid1(VALU_DEP_2)
	v_fma_f64 v[4:5], v[0:1], v[8:9], -v[4:5]
	v_fma_f64 v[6:7], v[2:3], v[8:9], v[6:7]
	global_load_b128 v[8:11], v78, s[8:9] offset:43520
	ds_load_b128 v[0:3], v78 offset:43520
	s_wait_loadcnt_dscnt 0x0
	;; [unrolled: 8-line block ×3, first 2 shown]
	v_mul_f64_e32 v[28:29], v[22:23], v[10:11]
	v_mul_f64_e32 v[10:11], v[20:21], v[10:11]
	s_delay_alu instid0(VALU_DEP_2) | instskip(NEXT) | instid1(VALU_DEP_2)
	v_fma_f64 v[20:21], v[20:21], v[8:9], -v[28:29]
	v_fma_f64 v[22:23], v[22:23], v[8:9], v[10:11]
	ds_store_b128 v78, v[94:97] offset:5120
	ds_store_b128 v78, v[60:63] offset:2560
	ds_store_b128 v78, v[83:86] offset:10240
	ds_store_b128 v78, v[66:69] offset:7680
	ds_store_b128 v78, v[79:82] offset:15360
	ds_store_b128 v78, v[90:93] offset:12800
	ds_store_b128 v78, v[24:27] offset:20480
	ds_store_b128 v78, v[70:73] offset:17920
	ds_store_b128 v78, v[30:33] offset:25600
	ds_store_b128 v78, v[16:19] offset:23040
	ds_store_b128 v78, v[36:39] offset:30720
	ds_store_b128 v78, v[12:15] offset:28160
	ds_store_b128 v78, v[42:45] offset:35840
	ds_store_b128 v78, v[74:77] offset:33280
	ds_store_b128 v78, v[48:51] offset:40960
	ds_store_b128 v78, v[4:7] offset:38400
	ds_store_b128 v78, v[54:57] offset:46080
	ds_store_b128 v78, v[0:3] offset:43520
	ds_store_b128 v78, v[98:101]
	ds_store_b128 v78, v[20:23] offset:48640
	global_wb scope:SCOPE_SE
	s_wait_dscnt 0x0
	s_barrier_signal -1
	s_barrier_wait -1
	global_inv scope:SCOPE_SE
	ds_load_b128 v[0:3], v78
	ds_load_b128 v[4:7], v78 offset:10240
	ds_load_b128 v[8:11], v78 offset:20480
	s_wait_dscnt 0x1
	v_add_f64_e32 v[12:13], v[0:1], v[4:5]
	s_wait_dscnt 0x0
	v_add_f64_e64 v[22:23], v[4:5], -v[8:9]
	v_add_f64_e64 v[24:25], v[8:9], -v[4:5]
	;; [unrolled: 1-line block ×4, first 2 shown]
	v_add_f64_e32 v[16:17], v[12:13], v[8:9]
	v_add_f64_e32 v[12:13], v[2:3], v[6:7]
	s_delay_alu instid0(VALU_DEP_1)
	v_add_f64_e32 v[18:19], v[12:13], v[10:11]
	ds_load_b128 v[12:15], v78 offset:30720
	s_wait_dscnt 0x0
	v_add_f64_e32 v[20:21], v[8:9], v[12:13]
	v_add_f64_e64 v[32:33], v[10:11], -v[14:15]
	v_add_f64_e32 v[26:27], v[10:11], v[14:15]
	v_add_f64_e64 v[34:35], v[8:9], -v[12:13]
	ds_load_b128 v[8:11], v78 offset:40960
	s_wait_dscnt 0x0
	v_add_f64_e64 v[36:37], v[6:7], -v[10:11]
	v_add_f64_e32 v[38:39], v[4:5], v[8:9]
	v_add_f64_e64 v[40:41], v[4:5], -v[8:9]
	v_add_f64_e32 v[42:43], v[6:7], v[10:11]
	v_add_f64_e32 v[4:5], v[16:17], v[12:13]
	;; [unrolled: 1-line block ×3, first 2 shown]
	v_add_f64_e64 v[44:45], v[8:9], -v[12:13]
	v_add_f64_e64 v[46:47], v[12:13], -v[8:9]
	v_add_f64_e64 v[48:49], v[10:11], -v[14:15]
	v_add_f64_e64 v[50:51], v[14:15], -v[10:11]
	v_fma_f64 v[85:86], v[26:27], -0.5, v[2:3]
	v_fma_f64 v[38:39], v[38:39], -0.5, v[0:1]
	;; [unrolled: 1-line block ×3, first 2 shown]
	v_add_f64_e32 v[52:53], v[4:5], v[8:9]
	v_add_f64_e32 v[54:55], v[6:7], v[10:11]
	ds_load_b128 v[4:7], v78 offset:15360
	ds_load_b128 v[8:11], v78 offset:5120
	;; [unrolled: 1-line block ×3, first 2 shown]
	v_add_f64_e32 v[48:49], v[28:29], v[48:49]
	v_add_f64_e32 v[28:29], v[30:31], v[50:51]
	;; [unrolled: 1-line block ×4, first 2 shown]
	s_wait_dscnt 0x1
	v_add_f64_e32 v[16:17], v[8:9], v[4:5]
	s_wait_dscnt 0x0
	v_add_f64_e64 v[64:65], v[4:5], -v[12:13]
	v_add_f64_e64 v[66:67], v[12:13], -v[4:5]
	;; [unrolled: 1-line block ×4, first 2 shown]
	v_add_f64_e32 v[56:57], v[16:17], v[12:13]
	v_add_f64_e32 v[16:17], v[10:11], v[6:7]
	s_delay_alu instid0(VALU_DEP_1)
	v_add_f64_e32 v[58:59], v[16:17], v[14:15]
	ds_load_b128 v[16:19], v78 offset:35840
	s_wait_dscnt 0x0
	v_add_f64_e32 v[68:69], v[14:15], v[18:19]
	v_add_f64_e32 v[60:61], v[12:13], v[16:17]
	v_add_f64_e64 v[62:63], v[14:15], -v[18:19]
	v_add_f64_e64 v[70:71], v[12:13], -v[16:17]
	ds_load_b128 v[12:15], v78 offset:46080
	s_wait_dscnt 0x0
	v_add_f64_e64 v[76:77], v[6:7], -v[14:15]
	v_add_f64_e32 v[79:80], v[4:5], v[12:13]
	v_add_f64_e64 v[81:82], v[4:5], -v[12:13]
	v_add_f64_e32 v[4:5], v[6:7], v[14:15]
	v_add_f64_e32 v[6:7], v[56:57], v[16:17]
	;; [unrolled: 1-line block ×3, first 2 shown]
	v_add_f64_e64 v[58:59], v[12:13], -v[16:17]
	v_add_f64_e64 v[16:17], v[16:17], -v[12:13]
	;; [unrolled: 1-line block ×4, first 2 shown]
	v_fma_f64 v[42:43], v[68:69], -0.5, v[10:11]
	v_fma_f64 v[60:61], v[60:61], -0.5, v[8:9]
	;; [unrolled: 1-line block ×4, first 2 shown]
	v_add_f64_e32 v[6:7], v[6:7], v[12:13]
	v_add_f64_e32 v[12:13], v[56:57], v[14:15]
	v_fma_f64 v[56:57], v[20:21], -0.5, v[0:1]
	v_add_f64_e32 v[30:31], v[66:67], v[16:17]
	v_add_f64_e32 v[46:47], v[74:75], v[18:19]
	v_fma_f64 v[8:9], v[81:82], s[16:17], v[42:43]
	v_fma_f64 v[10:11], v[76:77], s[18:19], v[60:61]
	;; [unrolled: 1-line block ×4, first 2 shown]
	v_add_f64_e32 v[0:1], v[52:53], v[6:7]
	v_add_f64_e32 v[2:3], v[54:55], v[12:13]
	v_add_f64_e64 v[4:5], v[52:53], -v[6:7]
	v_add_f64_e64 v[6:7], v[54:55], -v[12:13]
	v_add_f64_e32 v[54:55], v[72:73], v[83:84]
	v_add_f64_e32 v[52:53], v[64:65], v[58:59]
	v_fma_f64 v[8:9], v[70:71], s[2:3], v[8:9]
	v_fma_f64 v[10:11], v[62:63], s[12:13], v[10:11]
	;; [unrolled: 1-line block ×4, first 2 shown]
	s_delay_alu instid0(VALU_DEP_4) | instskip(NEXT) | instid1(VALU_DEP_4)
	v_fma_f64 v[8:9], v[54:55], s[14:15], v[8:9]
	v_fma_f64 v[10:11], v[52:53], s[14:15], v[10:11]
	s_delay_alu instid0(VALU_DEP_4) | instskip(NEXT) | instid1(VALU_DEP_4)
	v_fma_f64 v[18:19], v[30:31], s[14:15], v[18:19]
	v_fma_f64 v[16:17], v[46:47], s[14:15], v[16:17]
	s_delay_alu instid0(VALU_DEP_4) | instskip(NEXT) | instid1(VALU_DEP_1)
	v_mul_f64_e32 v[12:13], s[12:13], v[8:9]
	v_fma_f64 v[12:13], v[10:11], s[24:25], v[12:13]
	v_mul_f64_e32 v[10:11], s[2:3], v[10:11]
	s_delay_alu instid0(VALU_DEP_1) | instskip(SKIP_2) | instid1(VALU_DEP_2)
	v_fma_f64 v[14:15], v[8:9], s[24:25], v[10:11]
	v_fma_f64 v[8:9], v[36:37], s[18:19], v[56:57]
	;; [unrolled: 1-line block ×4, first 2 shown]
	s_delay_alu instid0(VALU_DEP_2) | instskip(NEXT) | instid1(VALU_DEP_2)
	v_fma_f64 v[10:11], v[34:35], s[2:3], v[10:11]
	v_fma_f64 v[20:21], v[44:45], s[14:15], v[8:9]
	s_delay_alu instid0(VALU_DEP_2) | instskip(NEXT) | instid1(VALU_DEP_2)
	v_fma_f64 v[22:23], v[48:49], s[14:15], v[10:11]
	v_add_f64_e32 v[8:9], v[20:21], v[12:13]
	v_add_f64_e64 v[12:13], v[20:21], -v[12:13]
	v_mul_f64_e32 v[20:21], s[18:19], v[16:17]
	v_mul_f64_e32 v[16:17], s[14:15], v[16:17]
	v_add_f64_e32 v[10:11], v[22:23], v[14:15]
	v_add_f64_e64 v[14:15], v[22:23], -v[14:15]
	s_delay_alu instid0(VALU_DEP_4) | instskip(NEXT) | instid1(VALU_DEP_4)
	v_fma_f64 v[20:21], v[18:19], s[14:15], v[20:21]
	v_fma_f64 v[22:23], v[18:19], s[16:17], v[16:17]
	;; [unrolled: 1-line block ×5, first 2 shown]
	s_delay_alu instid0(VALU_DEP_3) | instskip(NEXT) | instid1(VALU_DEP_3)
	v_fma_f64 v[16:17], v[36:37], s[12:13], v[16:17]
	v_fma_f64 v[38:39], v[36:37], s[2:3], v[38:39]
	s_delay_alu instid0(VALU_DEP_3) | instskip(SKIP_1) | instid1(VALU_DEP_4)
	v_fma_f64 v[18:19], v[40:41], s[2:3], v[18:19]
	v_fma_f64 v[36:37], v[36:37], s[16:17], v[56:57]
	;; [unrolled: 1-line block ×3, first 2 shown]
	s_delay_alu instid0(VALU_DEP_4)
	v_fma_f64 v[38:39], v[24:25], s[14:15], v[38:39]
	v_fma_f64 v[24:25], v[34:35], s[16:17], v[26:27]
	;; [unrolled: 1-line block ×5, first 2 shown]
	v_add_f64_e32 v[16:17], v[50:51], v[20:21]
	v_add_f64_e64 v[20:21], v[50:51], -v[20:21]
	v_fma_f64 v[24:25], v[40:41], s[12:13], v[24:25]
	v_fma_f64 v[26:27], v[76:77], s[2:3], v[26:27]
	;; [unrolled: 1-line block ×3, first 2 shown]
	v_add_f64_e32 v[18:19], v[58:59], v[22:23]
	v_add_f64_e64 v[22:23], v[58:59], -v[22:23]
	v_fma_f64 v[50:51], v[28:29], s[14:15], v[24:25]
	v_fma_f64 v[24:25], v[70:71], s[16:17], v[79:80]
	;; [unrolled: 1-line block ×5, first 2 shown]
	s_delay_alu instid0(VALU_DEP_4) | instskip(NEXT) | instid1(VALU_DEP_1)
	v_fma_f64 v[24:25], v[81:82], s[12:13], v[24:25]
	v_fma_f64 v[24:25], v[46:47], s[14:15], v[24:25]
	s_delay_alu instid0(VALU_DEP_1) | instskip(SKIP_1) | instid1(VALU_DEP_2)
	v_mul_f64_e32 v[28:29], s[18:19], v[24:25]
	v_mul_f64_e32 v[24:25], s[20:21], v[24:25]
	v_fma_f64 v[28:29], v[26:27], s[20:21], v[28:29]
	s_delay_alu instid0(VALU_DEP_2) | instskip(NEXT) | instid1(VALU_DEP_2)
	v_fma_f64 v[30:31], v[26:27], s[16:17], v[24:25]
	v_add_f64_e32 v[24:25], v[38:39], v[28:29]
	v_add_f64_e64 v[28:29], v[38:39], -v[28:29]
	v_fma_f64 v[38:39], v[81:82], s[18:19], v[42:43]
	v_fma_f64 v[42:43], v[76:77], s[16:17], v[60:61]
	v_add_f64_e32 v[26:27], v[50:51], v[30:31]
	v_add_f64_e64 v[30:31], v[50:51], -v[30:31]
	s_delay_alu instid0(VALU_DEP_4) | instskip(NEXT) | instid1(VALU_DEP_4)
	v_fma_f64 v[38:39], v[70:71], s[12:13], v[38:39]
	v_fma_f64 v[36:37], v[62:63], s[2:3], v[42:43]
	;; [unrolled: 1-line block ×3, first 2 shown]
	s_delay_alu instid0(VALU_DEP_3) | instskip(NEXT) | instid1(VALU_DEP_3)
	v_fma_f64 v[38:39], v[54:55], s[14:15], v[38:39]
	v_fma_f64 v[32:33], v[52:53], s[14:15], v[36:37]
	s_delay_alu instid0(VALU_DEP_2) | instskip(SKIP_1) | instid1(VALU_DEP_2)
	v_mul_f64_e32 v[34:35], s[12:13], v[38:39]
	v_mul_f64_e32 v[36:37], s[22:23], v[38:39]
	v_fma_f64 v[38:39], v[32:33], s[22:23], v[34:35]
	s_delay_alu instid0(VALU_DEP_2) | instskip(NEXT) | instid1(VALU_DEP_2)
	v_fma_f64 v[44:45], v[32:33], s[2:3], v[36:37]
	v_add_f64_e32 v[32:33], v[40:41], v[38:39]
	s_delay_alu instid0(VALU_DEP_2)
	v_add_f64_e32 v[34:35], v[42:43], v[44:45]
	v_add_f64_e64 v[36:37], v[40:41], -v[38:39]
	v_add_f64_e64 v[38:39], v[42:43], -v[44:45]
	ds_load_b128 v[40:43], v78 offset:7680
	ds_load_b128 v[44:47], v78 offset:48640
	;; [unrolled: 1-line block ×10, first 2 shown]
	global_wb scope:SCOPE_SE
	s_wait_dscnt 0x0
	s_barrier_signal -1
	s_barrier_wait -1
	global_inv scope:SCOPE_SE
	ds_store_b128 v103, v[0:3]
	ds_store_b128 v103, v[4:7] offset:80
	ds_store_b128 v103, v[8:11] offset:16
	;; [unrolled: 1-line block ×9, first 2 shown]
	v_add_f64_e32 v[0:1], v[52:53], v[56:57]
	v_add_f64_e32 v[2:3], v[54:55], v[58:59]
	;; [unrolled: 1-line block ×3, first 2 shown]
	v_add_f64_e64 v[34:35], v[68:69], -v[72:73]
	v_add_f64_e64 v[20:21], v[79:80], -v[72:73]
	v_add_f64_e64 v[22:23], v[72:73], -v[79:80]
	v_add_f64_e64 v[32:33], v[70:71], -v[74:75]
	v_add_f64_e64 v[8:9], v[56:57], -v[68:69]
	v_add_f64_e64 v[16:17], v[68:69], -v[56:57]
	v_add_f64_e32 v[6:7], v[70:71], v[74:75]
	v_add_f64_e64 v[10:11], v[58:59], -v[70:71]
	v_add_f64_e64 v[18:19], v[70:71], -v[58:59]
	v_add_f64_e64 v[36:37], v[58:59], -v[81:82]
	v_add_f64_e32 v[12:13], v[56:57], v[79:80]
	v_add_f64_e64 v[38:39], v[56:57], -v[79:80]
	v_add_f64_e32 v[14:15], v[58:59], v[81:82]
	v_add_f64_e64 v[24:25], v[81:82], -v[74:75]
	v_add_f64_e64 v[26:27], v[74:75], -v[81:82]
	v_add_f64_e32 v[56:57], v[60:61], v[64:65]
	v_add_f64_e64 v[58:59], v[62:63], -v[66:67]
	v_add_f64_e64 v[76:77], v[50:51], -v[46:47]
	;; [unrolled: 1-line block ×3, first 2 shown]
	v_add_f64_e32 v[0:1], v[0:1], v[68:69]
	v_add_f64_e32 v[2:3], v[2:3], v[70:71]
	v_add_f64_e64 v[68:69], v[48:49], -v[60:61]
	v_add_f64_e64 v[70:71], v[60:61], -v[48:49]
	v_fma_f64 v[85:86], v[4:5], -0.5, v[52:53]
	v_fma_f64 v[87:88], v[6:7], -0.5, v[54:55]
	;; [unrolled: 1-line block ×4, first 2 shown]
	v_add_f64_e32 v[26:27], v[18:19], v[26:27]
	v_fma_f64 v[56:57], v[56:57], -0.5, v[40:41]
	v_add_f64_e32 v[0:1], v[0:1], v[72:73]
	v_add_f64_e32 v[2:3], v[2:3], v[74:75]
	;; [unrolled: 1-line block ×3, first 2 shown]
	v_add_f64_e64 v[74:75], v[50:51], -v[62:63]
	s_delay_alu instid0(VALU_DEP_4)
	v_add_f64_e32 v[28:29], v[0:1], v[79:80]
	v_add_f64_e32 v[0:1], v[40:41], v[48:49]
	;; [unrolled: 1-line block ×5, first 2 shown]
	v_add_f64_e64 v[48:49], v[48:49], -v[44:45]
	v_add_f64_e64 v[81:82], v[44:45], -v[64:65]
	v_fma_f64 v[72:73], v[72:73], -0.5, v[42:43]
	v_add_f64_e32 v[0:1], v[0:1], v[60:61]
	v_add_f64_e64 v[60:61], v[60:61], -v[64:65]
	v_add_f64_e32 v[2:3], v[2:3], v[62:63]
	v_add_f64_e64 v[62:63], v[62:63], -v[50:51]
	v_add_f64_e32 v[50:51], v[50:51], v[46:47]
	v_fma_f64 v[40:41], v[79:80], -0.5, v[40:41]
	v_add_f64_e32 v[0:1], v[0:1], v[64:65]
	v_add_f64_e64 v[64:65], v[64:65], -v[44:45]
	v_add_f64_e32 v[2:3], v[2:3], v[66:67]
	v_add_f64_e64 v[66:67], v[66:67], -v[46:47]
	v_fma_f64 v[42:43], v[50:51], -0.5, v[42:43]
	v_add_f64_e32 v[50:51], v[68:69], v[81:82]
	v_add_f64_e32 v[68:69], v[74:75], v[83:84]
	v_fma_f64 v[18:19], v[58:59], s[16:17], v[40:41]
	v_add_f64_e32 v[44:45], v[0:1], v[44:45]
	v_add_f64_e32 v[46:47], v[2:3], v[46:47]
	s_delay_alu instid0(VALU_DEP_3) | instskip(NEXT) | instid1(VALU_DEP_3)
	v_fma_f64 v[18:19], v[76:77], s[12:13], v[18:19]
	v_add_f64_e32 v[0:1], v[28:29], v[44:45]
	v_add_f64_e64 v[4:5], v[28:29], -v[44:45]
	v_add_f64_e32 v[44:45], v[8:9], v[20:21]
	v_fma_f64 v[8:9], v[48:49], s[16:17], v[72:73]
	v_add_f64_e32 v[2:3], v[30:31], v[46:47]
	v_add_f64_e64 v[6:7], v[30:31], -v[46:47]
	v_add_f64_e32 v[46:47], v[10:11], v[24:25]
	v_fma_f64 v[10:11], v[76:77], s[18:19], v[56:57]
	v_add_f64_e32 v[30:31], v[62:63], v[66:67]
	v_add_f64_e32 v[28:29], v[70:71], v[64:65]
	v_fma_f64 v[8:9], v[60:61], s[2:3], v[8:9]
	s_delay_alu instid0(VALU_DEP_4) | instskip(NEXT) | instid1(VALU_DEP_3)
	v_fma_f64 v[10:11], v[58:59], s[12:13], v[10:11]
	v_fma_f64 v[18:19], v[28:29], s[14:15], v[18:19]
	s_delay_alu instid0(VALU_DEP_3) | instskip(NEXT) | instid1(VALU_DEP_3)
	v_fma_f64 v[8:9], v[68:69], s[14:15], v[8:9]
	v_fma_f64 v[10:11], v[50:51], s[14:15], v[10:11]
	s_delay_alu instid0(VALU_DEP_2) | instskip(NEXT) | instid1(VALU_DEP_1)
	v_mul_f64_e32 v[12:13], s[12:13], v[8:9]
	v_fma_f64 v[12:13], v[10:11], s[24:25], v[12:13]
	v_mul_f64_e32 v[10:11], s[2:3], v[10:11]
	s_delay_alu instid0(VALU_DEP_1) | instskip(SKIP_2) | instid1(VALU_DEP_2)
	v_fma_f64 v[14:15], v[8:9], s[24:25], v[10:11]
	v_fma_f64 v[10:11], v[38:39], s[16:17], v[87:88]
	;; [unrolled: 1-line block ×4, first 2 shown]
	s_delay_alu instid0(VALU_DEP_2) | instskip(NEXT) | instid1(VALU_DEP_2)
	v_fma_f64 v[8:9], v[32:33], s[12:13], v[8:9]
	v_fma_f64 v[24:25], v[46:47], s[14:15], v[10:11]
	s_delay_alu instid0(VALU_DEP_2) | instskip(NEXT) | instid1(VALU_DEP_2)
	v_fma_f64 v[20:21], v[44:45], s[14:15], v[8:9]
	v_add_f64_e32 v[10:11], v[24:25], v[14:15]
	v_add_f64_e64 v[14:15], v[24:25], -v[14:15]
	v_add_f64_e32 v[24:25], v[16:17], v[22:23]
	v_fma_f64 v[16:17], v[60:61], s[18:19], v[42:43]
	v_add_f64_e32 v[8:9], v[20:21], v[12:13]
	v_add_f64_e64 v[12:13], v[20:21], -v[12:13]
	s_delay_alu instid0(VALU_DEP_3) | instskip(NEXT) | instid1(VALU_DEP_1)
	v_fma_f64 v[16:17], v[48:49], s[2:3], v[16:17]
	v_fma_f64 v[16:17], v[30:31], s[14:15], v[16:17]
	s_delay_alu instid0(VALU_DEP_1) | instskip(SKIP_1) | instid1(VALU_DEP_2)
	v_mul_f64_e32 v[20:21], s[18:19], v[16:17]
	v_mul_f64_e32 v[16:17], s[14:15], v[16:17]
	v_fma_f64 v[20:21], v[18:19], s[14:15], v[20:21]
	s_delay_alu instid0(VALU_DEP_2) | instskip(SKIP_3) | instid1(VALU_DEP_3)
	v_fma_f64 v[22:23], v[18:19], s[16:17], v[16:17]
	v_fma_f64 v[16:17], v[32:33], s[16:17], v[52:53]
	;; [unrolled: 1-line block ×5, first 2 shown]
	s_delay_alu instid0(VALU_DEP_3) | instskip(NEXT) | instid1(VALU_DEP_3)
	v_fma_f64 v[52:53], v[36:37], s[2:3], v[52:53]
	v_fma_f64 v[18:19], v[38:39], s[2:3], v[18:19]
	;; [unrolled: 1-line block ×3, first 2 shown]
	s_delay_alu instid0(VALU_DEP_4) | instskip(NEXT) | instid1(VALU_DEP_4)
	v_fma_f64 v[62:63], v[24:25], s[14:15], v[16:17]
	v_fma_f64 v[52:53], v[24:25], s[14:15], v[52:53]
	;; [unrolled: 1-line block ×5, first 2 shown]
	v_add_f64_e32 v[16:17], v[62:63], v[20:21]
	v_add_f64_e64 v[20:21], v[62:63], -v[20:21]
	v_fma_f64 v[24:25], v[38:39], s[12:13], v[24:25]
	v_fma_f64 v[38:39], v[38:39], s[18:19], v[87:88]
	v_add_f64_e32 v[18:19], v[64:65], v[22:23]
	v_add_f64_e64 v[22:23], v[64:65], -v[22:23]
	s_delay_alu instid0(VALU_DEP_4)
	v_fma_f64 v[54:55], v[26:27], s[14:15], v[24:25]
	v_fma_f64 v[24:25], v[60:61], s[16:17], v[42:43]
	;; [unrolled: 1-line block ×16, first 2 shown]
	v_mul_f64_e32 v[28:29], s[18:19], v[24:25]
	v_mul_f64_e32 v[24:25], s[20:21], v[24:25]
	;; [unrolled: 1-line block ×4, first 2 shown]
	s_delay_alu instid0(VALU_DEP_4) | instskip(NEXT) | instid1(VALU_DEP_4)
	v_fma_f64 v[28:29], v[26:27], s[20:21], v[28:29]
	v_fma_f64 v[30:31], v[26:27], s[16:17], v[24:25]
	s_delay_alu instid0(VALU_DEP_4) | instskip(NEXT) | instid1(VALU_DEP_4)
	v_fma_f64 v[38:39], v[32:33], s[22:23], v[34:35]
	v_fma_f64 v[44:45], v[32:33], s[2:3], v[36:37]
	s_delay_alu instid0(VALU_DEP_4) | instskip(NEXT) | instid1(VALU_DEP_4)
	v_add_f64_e32 v[24:25], v[52:53], v[28:29]
	v_add_f64_e32 v[26:27], v[54:55], v[30:31]
	s_delay_alu instid0(VALU_DEP_4) | instskip(NEXT) | instid1(VALU_DEP_4)
	v_add_f64_e32 v[32:33], v[40:41], v[38:39]
	v_add_f64_e32 v[34:35], v[42:43], v[44:45]
	v_add_f64_e64 v[28:29], v[52:53], -v[28:29]
	v_add_f64_e64 v[30:31], v[54:55], -v[30:31]
	;; [unrolled: 1-line block ×4, first 2 shown]
	ds_store_b128 v102, v[0:3]
	ds_store_b128 v102, v[8:11] offset:16
	ds_store_b128 v102, v[16:19] offset:32
	;; [unrolled: 1-line block ×9, first 2 shown]
	global_wb scope:SCOPE_SE
	s_wait_dscnt 0x0
	s_barrier_signal -1
	s_barrier_wait -1
	global_inv scope:SCOPE_SE
	scratch_load_b128 v[6:9], off, off offset:340 th:TH_LOAD_LU ; 16-byte Folded Reload
	ds_load_b128 v[0:3], v78 offset:5120
	s_wait_dscnt 0x0
	v_mul_f64_e32 v[4:5], v[126:127], v[2:3]
	s_delay_alu instid0(VALU_DEP_1) | instskip(SKIP_1) | instid1(VALU_DEP_1)
	v_fma_f64 v[27:28], v[124:125], v[0:1], v[4:5]
	v_mul_f64_e32 v[0:1], v[126:127], v[0:1]
	v_fma_f64 v[29:30], v[124:125], v[2:3], -v[0:1]
	ds_load_b128 v[0:3], v78 offset:10240
	s_wait_dscnt 0x0
	v_mul_f64_e32 v[4:5], v[130:131], v[2:3]
	s_delay_alu instid0(VALU_DEP_1) | instskip(SKIP_1) | instid1(VALU_DEP_1)
	v_fma_f64 v[31:32], v[128:129], v[0:1], v[4:5]
	v_mul_f64_e32 v[0:1], v[130:131], v[0:1]
	v_fma_f64 v[33:34], v[128:129], v[2:3], -v[0:1]
	ds_load_b128 v[0:3], v78 offset:15360
	s_wait_loadcnt_dscnt 0x0
	v_mul_f64_e32 v[4:5], v[8:9], v[2:3]
	s_delay_alu instid0(VALU_DEP_1) | instskip(SKIP_1) | instid1(VALU_DEP_1)
	v_fma_f64 v[35:36], v[6:7], v[0:1], v[4:5]
	v_mul_f64_e32 v[0:1], v[8:9], v[0:1]
	v_fma_f64 v[37:38], v[6:7], v[2:3], -v[0:1]
	scratch_load_b128 v[6:9], off, off offset:356 th:TH_LOAD_LU ; 16-byte Folded Reload
	ds_load_b128 v[0:3], v78 offset:20480
	v_add_f64_e32 v[14:15], v[29:30], v[37:38]
	s_wait_loadcnt_dscnt 0x0
	v_mul_f64_e32 v[4:5], v[8:9], v[2:3]
	s_delay_alu instid0(VALU_DEP_1) | instskip(SKIP_1) | instid1(VALU_DEP_1)
	v_fma_f64 v[39:40], v[6:7], v[0:1], v[4:5]
	v_mul_f64_e32 v[0:1], v[8:9], v[0:1]
	v_fma_f64 v[41:42], v[6:7], v[2:3], -v[0:1]
	scratch_load_b128 v[6:9], off, off offset:372 th:TH_LOAD_LU ; 16-byte Folded Reload
	ds_load_b128 v[0:3], v78 offset:25600
	s_wait_loadcnt_dscnt 0x0
	v_mul_f64_e32 v[4:5], v[8:9], v[2:3]
	s_delay_alu instid0(VALU_DEP_1) | instskip(SKIP_1) | instid1(VALU_DEP_1)
	v_fma_f64 v[43:44], v[6:7], v[0:1], v[4:5]
	v_mul_f64_e32 v[0:1], v[8:9], v[0:1]
	v_fma_f64 v[45:46], v[6:7], v[2:3], -v[0:1]
	scratch_load_b128 v[6:9], off, off offset:388 th:TH_LOAD_LU ; 16-byte Folded Reload
	ds_load_b128 v[0:3], v78 offset:30720
	v_add_f64_e32 v[14:15], v[14:15], v[45:46]
	s_wait_loadcnt_dscnt 0x0
	v_mul_f64_e32 v[4:5], v[8:9], v[2:3]
	s_delay_alu instid0(VALU_DEP_1) | instskip(SKIP_1) | instid1(VALU_DEP_1)
	v_fma_f64 v[47:48], v[6:7], v[0:1], v[4:5]
	v_mul_f64_e32 v[0:1], v[8:9], v[0:1]
	v_fma_f64 v[49:50], v[6:7], v[2:3], -v[0:1]
	scratch_load_b128 v[6:9], off, off offset:404 th:TH_LOAD_LU ; 16-byte Folded Reload
	ds_load_b128 v[0:3], v78 offset:35840
	s_wait_loadcnt_dscnt 0x0
	v_mul_f64_e32 v[4:5], v[8:9], v[2:3]
	s_delay_alu instid0(VALU_DEP_1) | instskip(SKIP_1) | instid1(VALU_DEP_1)
	v_fma_f64 v[51:52], v[6:7], v[0:1], v[4:5]
	v_mul_f64_e32 v[0:1], v[8:9], v[0:1]
	v_fma_f64 v[53:54], v[6:7], v[2:3], -v[0:1]
	scratch_load_b128 v[6:9], off, off offset:420 th:TH_LOAD_LU ; 16-byte Folded Reload
	ds_load_b128 v[0:3], v78 offset:40960
	v_add_f64_e32 v[14:15], v[14:15], v[53:54]
	s_wait_loadcnt_dscnt 0x0
	v_mul_f64_e32 v[4:5], v[8:9], v[2:3]
	s_delay_alu instid0(VALU_DEP_1) | instskip(SKIP_1) | instid1(VALU_DEP_2)
	v_fma_f64 v[55:56], v[6:7], v[0:1], v[4:5]
	v_mul_f64_e32 v[0:1], v[8:9], v[0:1]
	v_add_f64_e32 v[12:13], v[31:32], v[55:56]
	s_delay_alu instid0(VALU_DEP_2)
	v_fma_f64 v[57:58], v[6:7], v[2:3], -v[0:1]
	scratch_load_b128 v[6:9], off, off offset:436 th:TH_LOAD_LU ; 16-byte Folded Reload
	ds_load_b128 v[0:3], v78 offset:46080
	v_add_f64_e64 v[128:129], v[31:32], -v[55:56]
	v_add_f64_e64 v[130:131], v[33:34], -v[57:58]
	s_wait_loadcnt_dscnt 0x0
	v_mul_f64_e32 v[4:5], v[8:9], v[2:3]
	s_delay_alu instid0(VALU_DEP_1) | instskip(SKIP_1) | instid1(VALU_DEP_2)
	v_fma_f64 v[59:60], v[6:7], v[0:1], v[4:5]
	v_mul_f64_e32 v[0:1], v[8:9], v[0:1]
	v_add_f64_e64 v[115:116], v[35:36], -v[59:60]
	s_delay_alu instid0(VALU_DEP_2)
	v_fma_f64 v[61:62], v[6:7], v[2:3], -v[0:1]
	scratch_load_b128 v[6:9], off, off offset:452 th:TH_LOAD_LU ; 16-byte Folded Reload
	ds_load_b128 v[0:3], v78 offset:7680
	v_add_f64_e32 v[14:15], v[14:15], v[61:62]
	v_add_f64_e64 v[112:113], v[37:38], -v[61:62]
	s_wait_loadcnt_dscnt 0x0
	v_mul_f64_e32 v[4:5], v[8:9], v[2:3]
	s_delay_alu instid0(VALU_DEP_1)
	v_fma_f64 v[132:133], v[6:7], v[0:1], v[4:5]
	v_mul_f64_e32 v[0:1], v[8:9], v[0:1]
	ds_load_b128 v[8:11], v78 offset:12800
	v_fma_f64 v[124:125], v[6:7], v[2:3], -v[0:1]
	scratch_load_b128 v[2:5], off, off offset:468 th:TH_LOAD_LU ; 16-byte Folded Reload
	v_add_f64_e64 v[6:7], v[45:46], -v[53:54]
	s_wait_loadcnt_dscnt 0x0
	v_mul_f64_e32 v[0:1], v[4:5], v[10:11]
	s_delay_alu instid0(VALU_DEP_1) | instskip(SKIP_1) | instid1(VALU_DEP_1)
	v_fma_f64 v[120:121], v[2:3], v[8:9], v[0:1]
	v_mul_f64_e32 v[0:1], v[4:5], v[8:9]
	v_fma_f64 v[110:111], v[2:3], v[10:11], -v[0:1]
	scratch_load_b128 v[2:5], off, off offset:484 th:TH_LOAD_LU ; 16-byte Folded Reload
	ds_load_b128 v[8:11], v78 offset:17920
	s_wait_loadcnt_dscnt 0x0
	v_mul_f64_e32 v[0:1], v[4:5], v[10:11]
	s_delay_alu instid0(VALU_DEP_1) | instskip(SKIP_1) | instid1(VALU_DEP_1)
	v_fma_f64 v[126:127], v[2:3], v[8:9], v[0:1]
	v_mul_f64_e32 v[0:1], v[4:5], v[8:9]
	v_fma_f64 v[122:123], v[2:3], v[10:11], -v[0:1]
	scratch_load_b128 v[2:5], off, off offset:500 th:TH_LOAD_LU ; 16-byte Folded Reload
	ds_load_b128 v[8:11], v78 offset:23040
	;; [unrolled: 8-line block ×6, first 2 shown]
	s_wait_dscnt 0x0
	v_mul_f64_e32 v[0:1], v[106:107], v[10:11]
	s_delay_alu instid0(VALU_DEP_1) | instskip(SKIP_1) | instid1(VALU_DEP_1)
	v_fma_f64 v[102:103], v[104:105], v[8:9], v[0:1]
	v_mul_f64_e32 v[0:1], v[106:107], v[8:9]
	v_fma_f64 v[104:105], v[104:105], v[10:11], -v[0:1]
	ds_load_b128 v[8:11], v78 offset:48640
	s_wait_loadcnt_dscnt 0x0
	v_mul_f64_e32 v[0:1], v[4:5], v[10:11]
	s_delay_alu instid0(VALU_DEP_1) | instskip(SKIP_2) | instid1(VALU_DEP_2)
	v_fma_f64 v[106:107], v[2:3], v[8:9], v[0:1]
	v_mul_f64_e32 v[0:1], v[4:5], v[8:9]
	v_add_f64_e64 v[4:5], v[41:42], -v[49:50]
	v_fma_f64 v[100:101], v[2:3], v[10:11], -v[0:1]
	ds_load_b128 v[8:11], v78
	v_add_f64_e32 v[0:1], v[39:40], v[47:48]
	v_add_f64_e64 v[2:3], v[39:40], -v[47:48]
	s_wait_dscnt 0x0
	v_fma_f64 v[63:64], v[12:13], -0.5, v[8:9]
	v_add_f64_e32 v[12:13], v[41:42], v[49:50]
	s_delay_alu instid0(VALU_DEP_4) | instskip(SKIP_1) | instid1(VALU_DEP_3)
	v_fma_f64 v[16:17], v[0:1], -0.5, v[8:9]
	v_add_f64_e32 v[8:9], v[8:9], v[31:32]
	v_fma_f64 v[65:66], v[12:13], -0.5, v[10:11]
	v_add_f64_e32 v[12:13], v[33:34], v[57:58]
	s_delay_alu instid0(VALU_DEP_3) | instskip(NEXT) | instid1(VALU_DEP_2)
	v_add_f64_e32 v[8:9], v[8:9], v[39:40]
	v_fma_f64 v[67:68], v[12:13], -0.5, v[10:11]
	v_add_f64_e32 v[10:11], v[10:11], v[33:34]
	v_add_f64_e32 v[12:13], v[27:28], v[35:36]
	s_delay_alu instid0(VALU_DEP_4) | instskip(NEXT) | instid1(VALU_DEP_3)
	v_add_f64_e32 v[8:9], v[8:9], v[47:48]
	v_add_f64_e32 v[10:11], v[10:11], v[41:42]
	s_delay_alu instid0(VALU_DEP_3) | instskip(NEXT) | instid1(VALU_DEP_3)
	v_add_f64_e32 v[12:13], v[12:13], v[43:44]
	v_add_f64_e32 v[19:20], v[8:9], v[55:56]
	v_add_f64_e64 v[8:9], v[43:44], -v[51:52]
	s_delay_alu instid0(VALU_DEP_4) | instskip(NEXT) | instid1(VALU_DEP_4)
	v_add_f64_e32 v[10:11], v[10:11], v[49:50]
	v_add_f64_e32 v[12:13], v[12:13], v[51:52]
	s_delay_alu instid0(VALU_DEP_2) | instskip(NEXT) | instid1(VALU_DEP_2)
	v_add_f64_e32 v[21:22], v[10:11], v[57:58]
	v_add_f64_e32 v[12:13], v[12:13], v[59:60]
	v_fma_f64 v[10:11], v[128:129], s[16:17], v[65:66]
	s_delay_alu instid0(VALU_DEP_3) | instskip(NEXT) | instid1(VALU_DEP_3)
	v_add_f64_e32 v[85:86], v[21:22], v[14:15]
	v_add_f64_e32 v[83:84], v[19:20], v[12:13]
	v_add_f64_e64 v[79:80], v[19:20], -v[12:13]
	v_add_f64_e64 v[81:82], v[21:22], -v[14:15]
	;; [unrolled: 1-line block ×4, first 2 shown]
	v_fma_f64 v[10:11], v[2:3], s[2:3], v[10:11]
	v_add_f64_e64 v[14:15], v[41:42], -v[33:34]
	s_delay_alu instid0(VALU_DEP_3) | instskip(SKIP_4) | instid1(VALU_DEP_3)
	v_add_f64_e32 v[69:70], v[19:20], v[21:22]
	v_add_f64_e64 v[19:20], v[33:34], -v[41:42]
	v_add_f64_e64 v[21:22], v[57:58], -v[49:50]
	;; [unrolled: 1-line block ×4, first 2 shown]
	v_add_f64_e32 v[71:72], v[19:20], v[21:22]
	v_add_f64_e64 v[19:20], v[35:36], -v[43:44]
	v_add_f64_e64 v[21:22], v[59:60], -v[51:52]
	v_add_f64_e32 v[35:36], v[35:36], v[59:60]
	s_delay_alu instid0(VALU_DEP_4) | instskip(NEXT) | instid1(VALU_DEP_3)
	v_fma_f64 v[10:11], v[71:72], s[14:15], v[10:11]
	v_add_f64_e32 v[73:74], v[19:20], v[21:22]
	v_add_f64_e64 v[19:20], v[37:38], -v[45:46]
	v_add_f64_e64 v[21:22], v[61:62], -v[53:54]
	v_add_f64_e32 v[37:38], v[37:38], v[61:62]
	s_delay_alu instid0(VALU_DEP_2) | instskip(SKIP_1) | instid1(VALU_DEP_3)
	v_add_f64_e32 v[75:76], v[19:20], v[21:22]
	v_add_f64_e32 v[19:20], v[43:44], v[51:52]
	v_fma_f64 v[37:38], v[37:38], -0.5, v[29:30]
	v_add_f64_e64 v[43:44], v[53:54], -v[61:62]
	v_add_f64_e64 v[61:62], v[120:121], -v[102:103]
	s_delay_alu instid0(VALU_DEP_4) | instskip(SKIP_1) | instid1(VALU_DEP_1)
	v_fma_f64 v[118:119], v[19:20], -0.5, v[27:28]
	v_add_f64_e32 v[19:20], v[45:46], v[53:54]
	v_fma_f64 v[12:13], v[19:20], -0.5, v[29:30]
	s_delay_alu instid0(VALU_DEP_3) | instskip(NEXT) | instid1(VALU_DEP_2)
	v_fma_f64 v[20:21], v[112:113], s[18:19], v[118:119]
	v_fma_f64 v[18:19], v[115:116], s[16:17], v[12:13]
	s_delay_alu instid0(VALU_DEP_2) | instskip(NEXT) | instid1(VALU_DEP_2)
	v_fma_f64 v[20:21], v[6:7], s[12:13], v[20:21]
	v_fma_f64 v[18:19], v[8:9], s[2:3], v[18:19]
	s_delay_alu instid0(VALU_DEP_2) | instskip(NEXT) | instid1(VALU_DEP_2)
	v_fma_f64 v[20:21], v[73:74], s[14:15], v[20:21]
	v_fma_f64 v[18:19], v[75:76], s[14:15], v[18:19]
	s_delay_alu instid0(VALU_DEP_1) | instskip(SKIP_1) | instid1(VALU_DEP_2)
	v_mul_f64_e32 v[22:23], s[12:13], v[18:19]
	v_mul_f64_e32 v[18:19], s[24:25], v[18:19]
	v_fma_f64 v[23:24], v[20:21], s[24:25], v[22:23]
	s_delay_alu instid0(VALU_DEP_2) | instskip(SKIP_1) | instid1(VALU_DEP_2)
	v_fma_f64 v[25:26], v[20:21], s[2:3], v[18:19]
	v_fma_f64 v[18:19], v[130:131], s[18:19], v[16:17]
	v_add_f64_e32 v[21:22], v[10:11], v[25:26]
	s_delay_alu instid0(VALU_DEP_2) | instskip(SKIP_3) | instid1(VALU_DEP_4)
	v_fma_f64 v[18:19], v[4:5], s[12:13], v[18:19]
	v_add_f64_e64 v[25:26], v[10:11], -v[25:26]
	v_add_f64_e64 v[10:11], v[47:48], -v[55:56]
	;; [unrolled: 1-line block ×3, first 2 shown]
	v_fma_f64 v[0:1], v[69:70], s[14:15], v[18:19]
	s_delay_alu instid0(VALU_DEP_1)
	v_add_f64_e32 v[19:20], v[0:1], v[23:24]
	v_add_f64_e64 v[23:24], v[0:1], -v[23:24]
	v_add_f64_e64 v[0:1], v[39:40], -v[31:32]
	;; [unrolled: 1-line block ×4, first 2 shown]
	ds_load_b128 v[51:54], v78 offset:2560
	global_wb scope:SCOPE_SE
	s_wait_dscnt 0x0
	s_barrier_signal -1
	s_barrier_wait -1
	global_inv scope:SCOPE_SE
	v_add_f64_e64 v[57:58], v[110:111], -v[104:105]
	v_add_f64_e64 v[59:60], v[142:143], -v[96:97]
	v_add_f64_e32 v[0:1], v[0:1], v[10:11]
	v_add_f64_e32 v[10:11], v[14:15], v[31:32]
	v_fma_f64 v[14:15], v[35:36], -0.5, v[27:28]
	v_fma_f64 v[27:28], v[8:9], s[18:19], v[37:38]
	v_add_f64_e32 v[35:36], v[33:34], v[39:40]
	v_add_f64_e32 v[39:40], v[41:42], v[43:44]
	v_fma_f64 v[37:38], v[8:9], s[16:17], v[37:38]
	v_fma_f64 v[29:30], v[6:7], s[16:17], v[14:15]
	;; [unrolled: 1-line block ×4, first 2 shown]
	s_delay_alu instid0(VALU_DEP_4) | instskip(NEXT) | instid1(VALU_DEP_4)
	v_fma_f64 v[37:38], v[115:116], s[12:13], v[37:38]
	v_fma_f64 v[29:30], v[112:113], s[12:13], v[29:30]
	s_delay_alu instid0(VALU_DEP_4) | instskip(NEXT) | instid1(VALU_DEP_4)
	v_fma_f64 v[27:28], v[39:40], s[14:15], v[27:28]
	v_fma_f64 v[14:15], v[112:113], s[2:3], v[14:15]
	;; [unrolled: 3-line block ×3, first 2 shown]
	s_delay_alu instid0(VALU_DEP_4)
	v_mul_f64_e32 v[31:32], s[18:19], v[27:28]
	v_mul_f64_e32 v[27:28], s[14:15], v[27:28]
	v_fma_f64 v[14:15], v[35:36], s[14:15], v[14:15]
	v_mul_f64_e32 v[35:36], s[18:19], v[37:38]
	v_mul_f64_e32 v[37:38], s[20:21], v[37:38]
	v_fma_f64 v[31:32], v[29:30], s[14:15], v[31:32]
	v_fma_f64 v[33:34], v[29:30], s[16:17], v[27:28]
	;; [unrolled: 1-line block ×6, first 2 shown]
	s_delay_alu instid0(VALU_DEP_4) | instskip(NEXT) | instid1(VALU_DEP_4)
	v_fma_f64 v[27:28], v[130:131], s[12:13], v[27:28]
	v_fma_f64 v[29:30], v[128:129], s[2:3], v[29:30]
	s_delay_alu instid0(VALU_DEP_2) | instskip(NEXT) | instid1(VALU_DEP_2)
	v_fma_f64 v[41:42], v[0:1], s[14:15], v[27:28]
	v_fma_f64 v[43:44], v[10:11], s[14:15], v[29:30]
	s_delay_alu instid0(VALU_DEP_2) | instskip(SKIP_2) | instid1(VALU_DEP_4)
	v_add_f64_e32 v[27:28], v[41:42], v[31:32]
	v_add_f64_e64 v[31:32], v[41:42], -v[31:32]
	v_fma_f64 v[41:42], v[4:5], s[18:19], v[63:64]
	v_add_f64_e32 v[29:30], v[43:44], v[33:34]
	v_add_f64_e64 v[33:34], v[43:44], -v[33:34]
	v_add_f64_e64 v[63:64], v[108:109], -v[94:95]
	s_delay_alu instid0(VALU_DEP_4) | instskip(NEXT) | instid1(VALU_DEP_1)
	v_fma_f64 v[41:42], v[130:131], s[2:3], v[41:42]
	v_fma_f64 v[0:1], v[0:1], s[14:15], v[41:42]
	;; [unrolled: 1-line block ×3, first 2 shown]
	v_add_f64_e64 v[67:68], v[88:89], -v[122:123]
	s_delay_alu instid0(VALU_DEP_3) | instskip(NEXT) | instid1(VALU_DEP_3)
	v_add_f64_e32 v[35:36], v[0:1], v[39:40]
	v_fma_f64 v[41:42], v[128:129], s[12:13], v[41:42]
	v_add_f64_e64 v[39:40], v[0:1], -v[39:40]
	v_fma_f64 v[0:1], v[115:116], s[18:19], v[12:13]
	v_fma_f64 v[12:13], v[128:129], s[18:19], v[65:66]
	v_add_f64_e64 v[65:66], v[98:99], -v[106:107]
	v_fma_f64 v[10:11], v[10:11], s[14:15], v[41:42]
	s_delay_alu instid0(VALU_DEP_4) | instskip(NEXT) | instid1(VALU_DEP_4)
	v_fma_f64 v[0:1], v[8:9], s[12:13], v[0:1]
	v_fma_f64 v[2:3], v[2:3], s[12:13], v[12:13]
	s_delay_alu instid0(VALU_DEP_3)
	v_add_f64_e32 v[37:38], v[10:11], v[14:15]
	v_add_f64_e64 v[41:42], v[10:11], -v[14:15]
	v_fma_f64 v[14:15], v[112:113], s[16:17], v[118:119]
	v_fma_f64 v[0:1], v[75:76], s[14:15], v[0:1]
	;; [unrolled: 1-line block ×4, first 2 shown]
	v_add_f64_e64 v[71:72], v[92:93], -v[100:101]
	v_fma_f64 v[6:7], v[6:7], s[2:3], v[14:15]
	v_mul_f64_e32 v[8:9], s[12:13], v[0:1]
	v_mul_f64_e32 v[0:1], s[22:23], v[0:1]
	v_fma_f64 v[4:5], v[4:5], s[2:3], v[10:11]
	s_delay_alu instid0(VALU_DEP_4) | instskip(NEXT) | instid1(VALU_DEP_2)
	v_fma_f64 v[6:7], v[73:74], s[14:15], v[6:7]
	v_fma_f64 v[4:5], v[69:70], s[14:15], v[4:5]
	v_add_f64_e32 v[69:70], v[122:123], v[100:101]
	s_delay_alu instid0(VALU_DEP_3) | instskip(SKIP_2) | instid1(VALU_DEP_4)
	v_fma_f64 v[0:1], v[6:7], s[2:3], v[0:1]
	v_fma_f64 v[8:9], v[6:7], s[22:23], v[8:9]
	v_add_f64_e32 v[6:7], v[124:125], v[122:123]
	v_fma_f64 v[69:70], v[69:70], -0.5, v[124:125]
	s_delay_alu instid0(VALU_DEP_4)
	v_add_f64_e32 v[45:46], v[2:3], v[0:1]
	v_add_f64_e64 v[49:50], v[2:3], -v[0:1]
	v_add_f64_e32 v[0:1], v[108:109], v[94:95]
	v_add_f64_e32 v[43:44], v[4:5], v[8:9]
	v_add_f64_e64 v[47:48], v[4:5], -v[8:9]
	ds_store_b128 v114, v[83:86]
	ds_store_b128 v114, v[79:82] offset:800
	ds_store_b128 v114, v[19:22] offset:160
	ds_store_b128 v114, v[27:30] offset:320
	ds_store_b128 v114, v[35:38] offset:480
	ds_store_b128 v114, v[43:46] offset:640
	ds_store_b128 v114, v[23:26] offset:960
	ds_store_b128 v114, v[31:34] offset:1120
	ds_store_b128 v114, v[39:42] offset:1280
	ds_store_b128 v114, v[47:50] offset:1440
	v_add_f64_e32 v[2:3], v[53:54], v[110:111]
	v_add_f64_e32 v[4:5], v[132:133], v[126:127]
	;; [unrolled: 1-line block ×3, first 2 shown]
	v_fma_f64 v[16:17], v[0:1], -0.5, v[51:52]
	v_add_f64_e32 v[0:1], v[120:121], v[102:103]
	v_add_f64_e64 v[49:50], v[126:127], -v[106:107]
	v_add_f64_e32 v[33:34], v[126:127], v[106:107]
	v_add_f64_e64 v[31:32], v[90:91], -v[126:127]
	v_add_f64_e32 v[2:3], v[2:3], v[142:143]
	v_add_f64_e32 v[4:5], v[4:5], v[90:91]
	;; [unrolled: 1-line block ×3, first 2 shown]
	v_fma_f64 v[27:28], v[0:1], -0.5, v[51:52]
	v_add_f64_e32 v[0:1], v[142:143], v[96:97]
	v_fma_f64 v[33:34], v[33:34], -0.5, v[132:133]
	v_add_f64_e32 v[31:32], v[31:32], v[65:66]
	v_add_f64_e32 v[65:66], v[67:68], v[71:72]
	;; [unrolled: 1-line block ×5, first 2 shown]
	v_fma_f64 v[35:36], v[0:1], -0.5, v[53:54]
	v_add_f64_e32 v[0:1], v[110:111], v[104:105]
	v_add_f64_e32 v[2:3], v[2:3], v[104:105]
	;; [unrolled: 1-line block ×3, first 2 shown]
	s_delay_alu instid0(VALU_DEP_3)
	v_fma_f64 v[29:30], v[0:1], -0.5, v[53:54]
	v_add_f64_e32 v[0:1], v[51:52], v[120:121]
	v_add_f64_e64 v[51:52], v[90:91], -v[98:99]
	v_add_f64_e64 v[53:54], v[122:123], -v[100:101]
	v_add_f64_e32 v[10:11], v[2:3], v[6:7]
	v_add_f64_e64 v[14:15], v[2:3], -v[6:7]
	v_add_f64_e64 v[2:3], v[102:103], -v[94:95]
	v_fma_f64 v[6:7], v[61:62], s[16:17], v[35:36]
	v_fma_f64 v[35:36], v[61:62], s[18:19], v[35:36]
	v_add_f64_e32 v[0:1], v[0:1], v[108:109]
	s_delay_alu instid0(VALU_DEP_3) | instskip(NEXT) | instid1(VALU_DEP_3)
	v_fma_f64 v[6:7], v[63:64], s[2:3], v[6:7]
	v_fma_f64 v[35:36], v[63:64], s[12:13], v[35:36]
	s_delay_alu instid0(VALU_DEP_3) | instskip(NEXT) | instid1(VALU_DEP_1)
	v_add_f64_e32 v[0:1], v[0:1], v[94:95]
	v_add_f64_e32 v[0:1], v[0:1], v[102:103]
	s_delay_alu instid0(VALU_DEP_1) | instskip(SKIP_2) | instid1(VALU_DEP_1)
	v_add_f64_e32 v[8:9], v[0:1], v[4:5]
	v_add_f64_e64 v[12:13], v[0:1], -v[4:5]
	v_add_f64_e64 v[0:1], v[120:121], -v[108:109]
	v_add_f64_e32 v[37:38], v[0:1], v[2:3]
	v_add_f64_e64 v[0:1], v[110:111], -v[142:143]
	v_add_f64_e64 v[2:3], v[104:105], -v[96:97]
	s_delay_alu instid0(VALU_DEP_1) | instskip(SKIP_2) | instid1(VALU_DEP_3)
	v_add_f64_e32 v[39:40], v[0:1], v[2:3]
	v_add_f64_e64 v[0:1], v[126:127], -v[90:91]
	v_add_f64_e64 v[2:3], v[106:107], -v[98:99]
	v_fma_f64 v[6:7], v[39:40], s[14:15], v[6:7]
	s_delay_alu instid0(VALU_DEP_2) | instskip(SKIP_2) | instid1(VALU_DEP_1)
	v_add_f64_e32 v[41:42], v[0:1], v[2:3]
	v_add_f64_e64 v[0:1], v[122:123], -v[88:89]
	v_add_f64_e64 v[2:3], v[100:101], -v[92:93]
	v_add_f64_e32 v[43:44], v[0:1], v[2:3]
	v_add_f64_e32 v[0:1], v[90:91], v[98:99]
	s_delay_alu instid0(VALU_DEP_1) | instskip(SKIP_1) | instid1(VALU_DEP_2)
	v_fma_f64 v[45:46], v[0:1], -0.5, v[132:133]
	v_add_f64_e32 v[0:1], v[88:89], v[92:93]
	v_fma_f64 v[2:3], v[53:54], s[18:19], v[45:46]
	s_delay_alu instid0(VALU_DEP_2) | instskip(SKIP_1) | instid1(VALU_DEP_3)
	v_fma_f64 v[47:48], v[0:1], -0.5, v[124:125]
	v_fma_f64 v[45:46], v[53:54], s[16:17], v[45:46]
	v_fma_f64 v[2:3], v[55:56], s[12:13], v[2:3]
	s_delay_alu instid0(VALU_DEP_3) | instskip(SKIP_1) | instid1(VALU_DEP_4)
	v_fma_f64 v[0:1], v[49:50], s[16:17], v[47:48]
	v_fma_f64 v[47:48], v[49:50], s[18:19], v[47:48]
	;; [unrolled: 1-line block ×3, first 2 shown]
	s_delay_alu instid0(VALU_DEP_4) | instskip(NEXT) | instid1(VALU_DEP_4)
	v_fma_f64 v[2:3], v[41:42], s[14:15], v[2:3]
	v_fma_f64 v[0:1], v[51:52], s[2:3], v[0:1]
	s_delay_alu instid0(VALU_DEP_4) | instskip(NEXT) | instid1(VALU_DEP_2)
	v_fma_f64 v[47:48], v[51:52], s[12:13], v[47:48]
	v_fma_f64 v[0:1], v[43:44], s[14:15], v[0:1]
	s_delay_alu instid0(VALU_DEP_2) | instskip(SKIP_2) | instid1(VALU_DEP_4)
	v_fma_f64 v[43:44], v[43:44], s[14:15], v[47:48]
	v_fma_f64 v[47:48], v[39:40], s[14:15], v[35:36]
	;; [unrolled: 1-line block ×3, first 2 shown]
	v_mul_f64_e32 v[4:5], s[12:13], v[0:1]
	v_mul_f64_e32 v[0:1], s[24:25], v[0:1]
	;; [unrolled: 1-line block ×3, first 2 shown]
	s_delay_alu instid0(VALU_DEP_3) | instskip(NEXT) | instid1(VALU_DEP_3)
	v_fma_f64 v[4:5], v[2:3], s[24:25], v[4:5]
	v_fma_f64 v[0:1], v[2:3], s[2:3], v[0:1]
	;; [unrolled: 1-line block ×4, first 2 shown]
	s_delay_alu instid0(VALU_DEP_3) | instskip(NEXT) | instid1(VALU_DEP_3)
	v_add_f64_e32 v[21:22], v[6:7], v[0:1]
	v_fma_f64 v[2:3], v[59:60], s[12:13], v[2:3]
	v_add_f64_e64 v[25:26], v[6:7], -v[0:1]
	v_add_f64_e64 v[0:1], v[108:109], -v[120:121]
	v_add_f64_e64 v[6:7], v[96:97], -v[104:105]
	v_fma_f64 v[16:17], v[59:60], s[2:3], v[16:17]
	v_fma_f64 v[2:3], v[37:38], s[14:15], v[2:3]
	s_delay_alu instid0(VALU_DEP_2) | instskip(SKIP_2) | instid1(VALU_DEP_4)
	v_fma_f64 v[16:17], v[37:38], s[14:15], v[16:17]
	v_mul_f64_e32 v[37:38], s[12:13], v[43:44]
	v_fma_f64 v[43:44], v[35:36], s[2:3], v[39:40]
	v_add_f64_e32 v[19:20], v[2:3], v[4:5]
	v_add_f64_e64 v[23:24], v[2:3], -v[4:5]
	v_add_f64_e64 v[2:3], v[94:95], -v[102:103]
	v_add_f64_e64 v[4:5], v[142:143], -v[110:111]
	v_fma_f64 v[41:42], v[35:36], s[22:23], v[37:38]
	v_add_f64_e32 v[37:38], v[47:48], v[43:44]
	s_delay_alu instid0(VALU_DEP_4)
	v_add_f64_e32 v[73:74], v[0:1], v[2:3]
	v_fma_f64 v[0:1], v[51:52], s[18:19], v[69:70]
	v_fma_f64 v[2:3], v[55:56], s[16:17], v[33:34]
	v_add_f64_e32 v[75:76], v[4:5], v[6:7]
	v_add_f64_e32 v[35:36], v[16:17], v[41:42]
	v_add_f64_e64 v[39:40], v[16:17], -v[41:42]
	v_add_f64_e64 v[41:42], v[47:48], -v[43:44]
	v_fma_f64 v[0:1], v[49:50], s[2:3], v[0:1]
	v_fma_f64 v[2:3], v[53:54], s[12:13], v[2:3]
	s_delay_alu instid0(VALU_DEP_2) | instskip(NEXT) | instid1(VALU_DEP_2)
	v_fma_f64 v[0:1], v[65:66], s[14:15], v[0:1]
	v_fma_f64 v[2:3], v[31:32], s[14:15], v[2:3]
	s_delay_alu instid0(VALU_DEP_2) | instskip(SKIP_1) | instid1(VALU_DEP_2)
	v_mul_f64_e32 v[4:5], s[18:19], v[0:1]
	v_mul_f64_e32 v[0:1], s[14:15], v[0:1]
	v_fma_f64 v[4:5], v[2:3], s[14:15], v[4:5]
	s_delay_alu instid0(VALU_DEP_2) | instskip(SKIP_3) | instid1(VALU_DEP_3)
	v_fma_f64 v[6:7], v[2:3], s[16:17], v[0:1]
	v_fma_f64 v[0:1], v[59:60], s[16:17], v[27:28]
	;; [unrolled: 1-line block ×5, first 2 shown]
	s_delay_alu instid0(VALU_DEP_3) | instskip(NEXT) | instid1(VALU_DEP_3)
	v_fma_f64 v[27:28], v[57:58], s[2:3], v[27:28]
	v_fma_f64 v[2:3], v[61:62], s[2:3], v[2:3]
	s_delay_alu instid0(VALU_DEP_3) | instskip(NEXT) | instid1(VALU_DEP_2)
	v_fma_f64 v[67:68], v[73:74], s[14:15], v[0:1]
	v_fma_f64 v[71:72], v[75:76], s[14:15], v[2:3]
	s_delay_alu instid0(VALU_DEP_2)
	v_add_f64_e32 v[0:1], v[67:68], v[4:5]
	v_add_f64_e64 v[4:5], v[67:68], -v[4:5]
	v_fma_f64 v[67:68], v[73:74], s[14:15], v[27:28]
	v_fma_f64 v[27:28], v[63:64], s[16:17], v[29:30]
	v_add_f64_e32 v[2:3], v[71:72], v[6:7]
	v_add_f64_e64 v[6:7], v[71:72], -v[6:7]
	v_fma_f64 v[29:30], v[55:56], s[18:19], v[33:34]
	s_delay_alu instid0(VALU_DEP_4) | instskip(NEXT) | instid1(VALU_DEP_2)
	v_fma_f64 v[27:28], v[61:62], s[12:13], v[27:28]
	v_fma_f64 v[29:30], v[53:54], s[2:3], v[29:30]
	s_mov_b32 s2, 0x47ae147b
	s_mov_b32 s3, 0x3f347ae1
	s_delay_alu instid0(VALU_DEP_2) | instskip(SKIP_1) | instid1(VALU_DEP_3)
	v_fma_f64 v[71:72], v[75:76], s[14:15], v[27:28]
	v_fma_f64 v[27:28], v[51:52], s[16:17], v[69:70]
	;; [unrolled: 1-line block ×3, first 2 shown]
	s_delay_alu instid0(VALU_DEP_2) | instskip(NEXT) | instid1(VALU_DEP_1)
	v_fma_f64 v[27:28], v[49:50], s[12:13], v[27:28]
	v_fma_f64 v[27:28], v[65:66], s[14:15], v[27:28]
	s_delay_alu instid0(VALU_DEP_1) | instskip(SKIP_1) | instid1(VALU_DEP_2)
	v_mul_f64_e32 v[31:32], s[18:19], v[27:28]
	v_mul_f64_e32 v[27:28], s[20:21], v[27:28]
	v_fma_f64 v[31:32], v[29:30], s[20:21], v[31:32]
	s_delay_alu instid0(VALU_DEP_2) | instskip(NEXT) | instid1(VALU_DEP_2)
	v_fma_f64 v[33:34], v[29:30], s[16:17], v[27:28]
	v_add_f64_e32 v[27:28], v[67:68], v[31:32]
	s_delay_alu instid0(VALU_DEP_2)
	v_add_f64_e32 v[29:30], v[71:72], v[33:34]
	v_add_f64_e64 v[31:32], v[67:68], -v[31:32]
	v_add_f64_e64 v[33:34], v[71:72], -v[33:34]
	ds_store_b128 v117, v[8:11]
	ds_store_b128 v117, v[19:22] offset:160
	ds_store_b128 v117, v[0:3] offset:320
	;; [unrolled: 1-line block ×9, first 2 shown]
	global_wb scope:SCOPE_SE
	s_wait_dscnt 0x0
	s_barrier_signal -1
	s_barrier_wait -1
	global_inv scope:SCOPE_SE
	s_clause 0x1
	scratch_load_b128 v[6:9], off, off offset:664 th:TH_LOAD_LU
	scratch_load_b128 v[10:13], off, off offset:696 th:TH_LOAD_LU
	ds_load_b128 v[0:3], v78 offset:12800
	scratch_load_b128 v[14:17], off, off offset:712 th:TH_LOAD_LU ; 16-byte Folded Reload
	s_wait_loadcnt_dscnt 0x200
	v_mul_f64_e32 v[4:5], v[8:9], v[2:3]
	s_delay_alu instid0(VALU_DEP_1) | instskip(SKIP_1) | instid1(VALU_DEP_1)
	v_fma_f64 v[24:25], v[6:7], v[0:1], v[4:5]
	v_mul_f64_e32 v[0:1], v[8:9], v[0:1]
	v_fma_f64 v[26:27], v[6:7], v[2:3], -v[0:1]
	scratch_load_b128 v[6:9], off, off offset:680 th:TH_LOAD_LU ; 16-byte Folded Reload
	ds_load_b128 v[0:3], v78 offset:25600
	s_wait_loadcnt_dscnt 0x0
	v_mul_f64_e32 v[4:5], v[8:9], v[2:3]
	s_delay_alu instid0(VALU_DEP_1) | instskip(SKIP_1) | instid1(VALU_DEP_1)
	v_fma_f64 v[4:5], v[6:7], v[0:1], v[4:5]
	v_mul_f64_e32 v[0:1], v[8:9], v[0:1]
	v_fma_f64 v[6:7], v[6:7], v[2:3], -v[0:1]
	ds_load_b128 v[0:3], v78 offset:38400
	s_wait_dscnt 0x0
	v_mul_f64_e32 v[8:9], v[12:13], v[2:3]
	s_delay_alu instid0(VALU_DEP_1) | instskip(SKIP_1) | instid1(VALU_DEP_2)
	v_fma_f64 v[8:9], v[10:11], v[0:1], v[8:9]
	v_mul_f64_e32 v[0:1], v[12:13], v[0:1]
	v_add_f64_e64 v[83:84], v[24:25], -v[8:9]
	s_delay_alu instid0(VALU_DEP_2) | instskip(SKIP_4) | instid1(VALU_DEP_2)
	v_fma_f64 v[10:11], v[10:11], v[2:3], -v[0:1]
	ds_load_b128 v[0:3], v78 offset:15360
	s_wait_dscnt 0x0
	v_mul_f64_e32 v[12:13], v[16:17], v[2:3]
	v_add_f64_e64 v[81:82], v[26:27], -v[10:11]
	v_fma_f64 v[28:29], v[14:15], v[0:1], v[12:13]
	v_mul_f64_e32 v[0:1], v[16:17], v[0:1]
	s_delay_alu instid0(VALU_DEP_1) | instskip(SKIP_4) | instid1(VALU_DEP_1)
	v_fma_f64 v[30:31], v[14:15], v[2:3], -v[0:1]
	scratch_load_b128 v[14:17], off, off offset:728 th:TH_LOAD_LU ; 16-byte Folded Reload
	ds_load_b128 v[0:3], v78 offset:28160
	s_wait_loadcnt_dscnt 0x0
	v_mul_f64_e32 v[12:13], v[16:17], v[2:3]
	v_fma_f64 v[32:33], v[14:15], v[0:1], v[12:13]
	v_mul_f64_e32 v[0:1], v[16:17], v[0:1]
	s_delay_alu instid0(VALU_DEP_1) | instskip(SKIP_3) | instid1(VALU_DEP_1)
	v_fma_f64 v[34:35], v[14:15], v[2:3], -v[0:1]
	ds_load_b128 v[0:3], v78 offset:40960
	s_wait_dscnt 0x0
	v_mul_f64_e32 v[12:13], v[214:215], v[2:3]
	v_fma_f64 v[36:37], v[212:213], v[0:1], v[12:13]
	v_mul_f64_e32 v[0:1], v[214:215], v[0:1]
	s_delay_alu instid0(VALU_DEP_1) | instskip(SKIP_3) | instid1(VALU_DEP_1)
	v_fma_f64 v[38:39], v[212:213], v[2:3], -v[0:1]
	ds_load_b128 v[0:3], v78 offset:17920
	s_wait_dscnt 0x0
	;; [unrolled: 7-line block ×10, first 2 shown]
	v_mul_f64_e32 v[12:13], v[254:255], v[2:3]
	v_fma_f64 v[72:73], v[252:253], v[0:1], v[12:13]
	v_mul_f64_e32 v[0:1], v[254:255], v[0:1]
	s_delay_alu instid0(VALU_DEP_1)
	v_fma_f64 v[74:75], v[252:253], v[2:3], -v[0:1]
	ds_load_b128 v[0:3], v78
	ds_load_b128 v[8:11], v78 offset:2560
	ds_load_b128 v[12:15], v78 offset:5120
	;; [unrolled: 1-line block ×4, first 2 shown]
	global_wb scope:SCOPE_SE
	s_wait_dscnt 0x0
	s_barrier_signal -1
	s_barrier_wait -1
	global_inv scope:SCOPE_SE
	scratch_load_b32 v85, off, off offset:748 th:TH_LOAD_LU ; 4-byte Folded Reload
	v_add_f64_e64 v[4:5], v[0:1], -v[4:5]
	v_add_f64_e64 v[6:7], v[2:3], -v[6:7]
	s_delay_alu instid0(VALU_DEP_2) | instskip(NEXT) | instid1(VALU_DEP_2)
	v_fma_f64 v[76:77], v[0:1], 2.0, -v[4:5]
	v_fma_f64 v[79:80], v[2:3], 2.0, -v[6:7]
	v_add_f64_e32 v[0:1], v[4:5], v[81:82]
	v_add_f64_e64 v[2:3], v[6:7], -v[83:84]
	s_delay_alu instid0(VALU_DEP_2) | instskip(NEXT) | instid1(VALU_DEP_2)
	v_fma_f64 v[4:5], v[4:5], 2.0, -v[0:1]
	v_fma_f64 v[6:7], v[6:7], 2.0, -v[2:3]
	s_wait_loadcnt 0x0
	ds_store_b128 v85, v[0:3] offset:4800
	v_fma_f64 v[0:1], v[24:25], 2.0, -v[83:84]
	v_fma_f64 v[2:3], v[26:27], 2.0, -v[81:82]
	s_delay_alu instid0(VALU_DEP_2) | instskip(NEXT) | instid1(VALU_DEP_2)
	v_add_f64_e64 v[0:1], v[76:77], -v[0:1]
	v_add_f64_e64 v[2:3], v[79:80], -v[2:3]
	s_delay_alu instid0(VALU_DEP_2) | instskip(NEXT) | instid1(VALU_DEP_2)
	v_fma_f64 v[24:25], v[76:77], 2.0, -v[0:1]
	v_fma_f64 v[26:27], v[79:80], 2.0, -v[2:3]
	ds_store_b128 v85, v[0:3] offset:3200
	ds_store_b128 v85, v[4:7] offset:1600
	ds_store_b128 v85, v[24:27]
	v_add_f64_e64 v[24:25], v[8:9], -v[32:33]
	v_add_f64_e64 v[26:27], v[10:11], -v[34:35]
	s_delay_alu instid0(VALU_DEP_2) | instskip(SKIP_1) | instid1(VALU_DEP_3)
	v_fma_f64 v[4:5], v[8:9], 2.0, -v[24:25]
	v_add_f64_e64 v[8:9], v[28:29], -v[36:37]
	v_fma_f64 v[6:7], v[10:11], 2.0, -v[26:27]
	v_add_f64_e64 v[10:11], v[30:31], -v[38:39]
	s_delay_alu instid0(VALU_DEP_3) | instskip(SKIP_3) | instid1(VALU_DEP_2)
	v_fma_f64 v[0:1], v[28:29], 2.0, -v[8:9]
	scratch_load_b32 v28, off, off offset:752 th:TH_LOAD_LU ; 4-byte Folded Reload
	v_fma_f64 v[2:3], v[30:31], 2.0, -v[10:11]
	v_add_f64_e64 v[0:1], v[4:5], -v[0:1]
	v_add_f64_e64 v[2:3], v[6:7], -v[2:3]
	s_delay_alu instid0(VALU_DEP_2) | instskip(NEXT) | instid1(VALU_DEP_2)
	v_fma_f64 v[4:5], v[4:5], 2.0, -v[0:1]
	v_fma_f64 v[6:7], v[6:7], 2.0, -v[2:3]
	s_wait_loadcnt 0x0
	ds_store_b128 v28, v[4:7]
	v_add_f64_e32 v[4:5], v[24:25], v[10:11]
	v_add_f64_e64 v[6:7], v[26:27], -v[8:9]
	s_delay_alu instid0(VALU_DEP_2) | instskip(NEXT) | instid1(VALU_DEP_2)
	v_fma_f64 v[8:9], v[24:25], 2.0, -v[4:5]
	v_fma_f64 v[10:11], v[26:27], 2.0, -v[6:7]
	ds_store_b128 v28, v[8:11] offset:1600
	ds_store_b128 v28, v[0:3] offset:3200
	;; [unrolled: 1-line block ×3, first 2 shown]
	scratch_load_b32 v24, off, off offset:744 th:TH_LOAD_LU ; 4-byte Folded Reload
	v_add_f64_e64 v[8:9], v[12:13], -v[44:45]
	v_add_f64_e64 v[10:11], v[14:15], -v[46:47]
	s_delay_alu instid0(VALU_DEP_2) | instskip(NEXT) | instid1(VALU_DEP_2)
	v_fma_f64 v[4:5], v[12:13], 2.0, -v[8:9]
	v_fma_f64 v[6:7], v[14:15], 2.0, -v[10:11]
	v_add_f64_e64 v[12:13], v[40:41], -v[48:49]
	v_add_f64_e64 v[14:15], v[42:43], -v[50:51]
	s_delay_alu instid0(VALU_DEP_2) | instskip(NEXT) | instid1(VALU_DEP_2)
	v_fma_f64 v[0:1], v[40:41], 2.0, -v[12:13]
	v_fma_f64 v[2:3], v[42:43], 2.0, -v[14:15]
	s_delay_alu instid0(VALU_DEP_2) | instskip(NEXT) | instid1(VALU_DEP_2)
	v_add_f64_e64 v[0:1], v[4:5], -v[0:1]
	v_add_f64_e64 v[2:3], v[6:7], -v[2:3]
	s_delay_alu instid0(VALU_DEP_2) | instskip(NEXT) | instid1(VALU_DEP_2)
	v_fma_f64 v[4:5], v[4:5], 2.0, -v[0:1]
	v_fma_f64 v[6:7], v[6:7], 2.0, -v[2:3]
	s_wait_loadcnt 0x0
	ds_store_b128 v24, v[4:7]
	v_add_f64_e32 v[4:5], v[8:9], v[14:15]
	v_add_f64_e64 v[6:7], v[10:11], -v[12:13]
	v_add_f64_e64 v[12:13], v[52:53], -v[60:61]
	;; [unrolled: 1-line block ×3, first 2 shown]
	s_delay_alu instid0(VALU_DEP_4) | instskip(NEXT) | instid1(VALU_DEP_4)
	v_fma_f64 v[8:9], v[8:9], 2.0, -v[4:5]
	v_fma_f64 v[10:11], v[10:11], 2.0, -v[6:7]
	ds_store_b128 v24, v[8:11] offset:1600
	ds_store_b128 v24, v[0:3] offset:3200
	;; [unrolled: 1-line block ×3, first 2 shown]
	v_add_f64_e64 v[8:9], v[16:17], -v[56:57]
	v_add_f64_e64 v[10:11], v[18:19], -v[58:59]
	v_fma_f64 v[0:1], v[52:53], 2.0, -v[12:13]
	v_fma_f64 v[2:3], v[54:55], 2.0, -v[14:15]
	s_delay_alu instid0(VALU_DEP_4) | instskip(SKIP_3) | instid1(VALU_DEP_2)
	v_fma_f64 v[4:5], v[16:17], 2.0, -v[8:9]
	scratch_load_b32 v16, off, off offset:760 th:TH_LOAD_LU ; 4-byte Folded Reload
	v_fma_f64 v[6:7], v[18:19], 2.0, -v[10:11]
	v_add_f64_e64 v[0:1], v[4:5], -v[0:1]
	v_add_f64_e64 v[2:3], v[6:7], -v[2:3]
	s_delay_alu instid0(VALU_DEP_2) | instskip(NEXT) | instid1(VALU_DEP_2)
	v_fma_f64 v[4:5], v[4:5], 2.0, -v[0:1]
	v_fma_f64 v[6:7], v[6:7], 2.0, -v[2:3]
	s_wait_loadcnt 0x0
	ds_store_b128 v16, v[4:7]
	v_add_f64_e32 v[4:5], v[8:9], v[14:15]
	v_add_f64_e64 v[6:7], v[10:11], -v[12:13]
	v_add_f64_e64 v[12:13], v[64:65], -v[72:73]
	;; [unrolled: 1-line block ×3, first 2 shown]
	s_delay_alu instid0(VALU_DEP_4) | instskip(NEXT) | instid1(VALU_DEP_4)
	v_fma_f64 v[8:9], v[8:9], 2.0, -v[4:5]
	v_fma_f64 v[10:11], v[10:11], 2.0, -v[6:7]
	ds_store_b128 v16, v[8:11] offset:1600
	ds_store_b128 v16, v[0:3] offset:3200
	;; [unrolled: 1-line block ×3, first 2 shown]
	scratch_load_b32 v16, off, off offset:756 th:TH_LOAD_LU ; 4-byte Folded Reload
	v_add_f64_e64 v[8:9], v[20:21], -v[68:69]
	v_add_f64_e64 v[10:11], v[22:23], -v[70:71]
	v_fma_f64 v[0:1], v[64:65], 2.0, -v[12:13]
	v_fma_f64 v[2:3], v[66:67], 2.0, -v[14:15]
	s_delay_alu instid0(VALU_DEP_4) | instskip(NEXT) | instid1(VALU_DEP_4)
	v_fma_f64 v[4:5], v[20:21], 2.0, -v[8:9]
	v_fma_f64 v[6:7], v[22:23], 2.0, -v[10:11]
	s_delay_alu instid0(VALU_DEP_2) | instskip(NEXT) | instid1(VALU_DEP_2)
	v_add_f64_e64 v[0:1], v[4:5], -v[0:1]
	v_add_f64_e64 v[2:3], v[6:7], -v[2:3]
	s_delay_alu instid0(VALU_DEP_2) | instskip(NEXT) | instid1(VALU_DEP_2)
	v_fma_f64 v[4:5], v[4:5], 2.0, -v[0:1]
	v_fma_f64 v[6:7], v[6:7], 2.0, -v[2:3]
	s_wait_loadcnt 0x0
	ds_store_b128 v16, v[4:7]
	v_add_f64_e32 v[4:5], v[8:9], v[14:15]
	v_add_f64_e64 v[6:7], v[10:11], -v[12:13]
	s_delay_alu instid0(VALU_DEP_2) | instskip(NEXT) | instid1(VALU_DEP_2)
	v_fma_f64 v[8:9], v[8:9], 2.0, -v[4:5]
	v_fma_f64 v[10:11], v[10:11], 2.0, -v[6:7]
	ds_store_b128 v16, v[8:11] offset:1600
	ds_store_b128 v16, v[0:3] offset:3200
	;; [unrolled: 1-line block ×3, first 2 shown]
	global_wb scope:SCOPE_SE
	s_wait_dscnt 0x0
	s_barrier_signal -1
	s_barrier_wait -1
	global_inv scope:SCOPE_SE
	ds_load_b128 v[0:3], v78 offset:12800
	ds_load_b128 v[44:47], v78
	s_wait_dscnt 0x1
	v_mul_f64_e32 v[4:5], v[246:247], v[2:3]
	s_delay_alu instid0(VALU_DEP_1) | instskip(SKIP_1) | instid1(VALU_DEP_1)
	v_fma_f64 v[4:5], v[244:245], v[0:1], v[4:5]
	v_mul_f64_e32 v[0:1], v[246:247], v[0:1]
	v_fma_f64 v[6:7], v[244:245], v[2:3], -v[0:1]
	ds_load_b128 v[0:3], v78 offset:25600
	s_wait_dscnt 0x0
	v_mul_f64_e32 v[8:9], v[210:211], v[2:3]
	s_delay_alu instid0(VALU_DEP_1) | instskip(SKIP_1) | instid1(VALU_DEP_1)
	v_fma_f64 v[42:43], v[208:209], v[0:1], v[8:9]
	v_mul_f64_e32 v[0:1], v[210:211], v[0:1]
	v_fma_f64 v[48:49], v[208:209], v[2:3], -v[0:1]
	ds_load_b128 v[0:3], v78 offset:38400
	s_wait_dscnt 0x0
	v_mul_f64_e32 v[8:9], v[206:207], v[2:3]
	s_delay_alu instid0(VALU_DEP_1)
	v_fma_f64 v[50:51], v[204:205], v[0:1], v[8:9]
	v_mul_f64_e32 v[0:1], v[206:207], v[0:1]
	ds_load_b128 v[8:11], v78 offset:15360
	v_add_f64_e64 v[82:83], v[4:5], -v[50:51]
	v_fma_f64 v[52:53], v[204:205], v[2:3], -v[0:1]
	s_wait_dscnt 0x0
	v_mul_f64_e32 v[0:1], v[194:195], v[10:11]
	s_delay_alu instid0(VALU_DEP_3) | instskip(NEXT) | instid1(VALU_DEP_3)
	v_fma_f64 v[3:4], v[4:5], 2.0, -v[82:83]
	v_add_f64_e64 v[80:81], v[6:7], -v[52:53]
	s_delay_alu instid0(VALU_DEP_3) | instskip(SKIP_1) | instid1(VALU_DEP_3)
	v_fma_f64 v[1:2], v[192:193], v[8:9], v[0:1]
	v_mul_f64_e32 v[8:9], v[194:195], v[8:9]
	v_fma_f64 v[5:6], v[6:7], 2.0, -v[80:81]
	s_delay_alu instid0(VALU_DEP_2) | instskip(SKIP_3) | instid1(VALU_DEP_1)
	v_fma_f64 v[12:13], v[192:193], v[10:11], -v[8:9]
	ds_load_b128 v[8:11], v78 offset:28160
	s_wait_dscnt 0x0
	v_mul_f64_e32 v[14:15], v[198:199], v[10:11]
	v_fma_f64 v[72:73], v[196:197], v[8:9], v[14:15]
	v_mul_f64_e32 v[8:9], v[198:199], v[8:9]
	s_delay_alu instid0(VALU_DEP_1) | instskip(SKIP_3) | instid1(VALU_DEP_1)
	v_fma_f64 v[68:69], v[196:197], v[10:11], -v[8:9]
	ds_load_b128 v[8:11], v78 offset:40960
	s_wait_dscnt 0x0
	v_mul_f64_e32 v[14:15], v[202:203], v[10:11]
	v_fma_f64 v[70:71], v[200:201], v[8:9], v[14:15]
	v_mul_f64_e32 v[8:9], v[202:203], v[8:9]
	s_delay_alu instid0(VALU_DEP_1) | instskip(SKIP_3) | instid1(VALU_DEP_1)
	;; [unrolled: 7-line block ×4, first 2 shown]
	v_fma_f64 v[74:75], v[184:185], v[10:11], -v[8:9]
	ds_load_b128 v[8:11], v78 offset:43520
	s_wait_dscnt 0x0
	v_mul_f64_e32 v[14:15], v[190:191], v[10:11]
	v_fma_f64 v[76:77], v[188:189], v[8:9], v[14:15]
	v_mul_f64_e32 v[8:9], v[190:191], v[8:9]
	s_delay_alu instid0(VALU_DEP_1) | instskip(SKIP_4) | instid1(VALU_DEP_2)
	v_fma_f64 v[40:41], v[188:189], v[10:11], -v[8:9]
	ds_load_b128 v[8:11], v78 offset:20480
	s_wait_dscnt 0x0
	v_mul_f64_e32 v[14:15], v[182:183], v[10:11]
	v_add_f64_e64 v[40:41], v[22:23], -v[40:41]
	v_fma_f64 v[18:19], v[180:181], v[8:9], v[14:15]
	v_mul_f64_e32 v[8:9], v[182:183], v[8:9]
	s_delay_alu instid0(VALU_DEP_1) | instskip(SKIP_3) | instid1(VALU_DEP_1)
	v_fma_f64 v[14:15], v[180:181], v[10:11], -v[8:9]
	ds_load_b128 v[8:11], v78 offset:33280
	s_wait_dscnt 0x0
	v_mul_f64_e32 v[16:17], v[178:179], v[10:11]
	v_fma_f64 v[26:27], v[176:177], v[8:9], v[16:17]
	v_mul_f64_e32 v[8:9], v[178:179], v[8:9]
	s_delay_alu instid0(VALU_DEP_1) | instskip(SKIP_3) | instid1(VALU_DEP_1)
	v_fma_f64 v[30:31], v[176:177], v[10:11], -v[8:9]
	ds_load_b128 v[8:11], v78 offset:46080
	s_wait_dscnt 0x0
	v_mul_f64_e32 v[16:17], v[174:175], v[10:11]
	;; [unrolled: 7-line block ×5, first 2 shown]
	v_fma_f64 v[38:39], v[134:135], v[8:9], v[38:39]
	v_mul_f64_e32 v[8:9], v[136:137], v[8:9]
	s_delay_alu instid0(VALU_DEP_1)
	v_fma_f64 v[8:9], v[134:135], v[10:11], -v[8:9]
	v_add_f64_e64 v[10:11], v[44:45], -v[42:43]
	v_add_f64_e64 v[42:43], v[46:47], -v[48:49]
	ds_load_b128 v[48:51], v78 offset:2560
	ds_load_b128 v[52:55], v78 offset:5120
	ds_load_b128 v[56:59], v78 offset:7680
	ds_load_b128 v[64:67], v78 offset:10240
	global_wb scope:SCOPE_SE
	s_wait_dscnt 0x0
	s_barrier_signal -1
	s_barrier_wait -1
	global_inv scope:SCOPE_SE
	v_add_f64_e32 v[84:85], v[10:11], v[80:81]
	v_add_f64_e64 v[86:87], v[42:43], -v[82:83]
	v_fma_f64 v[60:61], v[44:45], 2.0, -v[10:11]
	v_fma_f64 v[62:63], v[46:47], 2.0, -v[42:43]
	s_delay_alu instid0(VALU_DEP_4) | instskip(NEXT) | instid1(VALU_DEP_4)
	v_fma_f64 v[44:45], v[10:11], 2.0, -v[84:85]
	v_fma_f64 v[46:47], v[42:43], 2.0, -v[86:87]
	ds_store_b128 v78, v[84:87] offset:19200
	v_add_f64_e64 v[10:11], v[48:49], -v[72:73]
	v_add_f64_e64 v[42:43], v[50:51], -v[68:69]
	;; [unrolled: 1-line block ×6, first 2 shown]
	v_fma_f64 v[72:73], v[48:49], 2.0, -v[10:11]
	v_fma_f64 v[84:85], v[50:51], 2.0, -v[42:43]
	v_add_f64_e32 v[48:49], v[10:11], v[86:87]
	v_add_f64_e64 v[50:51], v[42:43], -v[90:91]
	v_fma_f64 v[0:1], v[1:2], 2.0, -v[90:91]
	s_delay_alu instid0(VALU_DEP_3) | instskip(NEXT) | instid1(VALU_DEP_3)
	v_fma_f64 v[68:69], v[10:11], 2.0, -v[48:49]
	v_fma_f64 v[70:71], v[42:43], 2.0, -v[50:51]
	ds_store_b128 v78, v[48:51] offset:21760
	ds_store_b128 v78, v[44:47] offset:6400
	;; [unrolled: 1-line block ×3, first 2 shown]
	v_fma_f64 v[42:43], v[60:61], 2.0, -v[3:4]
	ds_store_b128 v78, v[3:6] offset:12800
	v_fma_f64 v[2:3], v[12:13], 2.0, -v[86:87]
	v_add_f64_e64 v[0:1], v[72:73], -v[0:1]
	v_fma_f64 v[44:45], v[62:63], 2.0, -v[5:6]
	v_add_f64_e64 v[10:11], v[52:53], -v[88:89]
	v_add_f64_e64 v[12:13], v[54:55], -v[74:75]
	;; [unrolled: 1-line block ×3, first 2 shown]
	v_fma_f64 v[4:5], v[72:73], 2.0, -v[0:1]
	s_delay_alu instid0(VALU_DEP_2)
	v_fma_f64 v[6:7], v[84:85], 2.0, -v[2:3]
	ds_store_b128 v78, v[0:3] offset:15360
	ds_store_b128 v78, v[42:45]
	ds_store_b128 v78, v[4:7] offset:2560
	v_add_f64_e64 v[42:43], v[20:21], -v[76:77]
	v_fma_f64 v[4:5], v[52:53], 2.0, -v[10:11]
	v_fma_f64 v[6:7], v[54:55], 2.0, -v[12:13]
	v_fma_f64 v[2:3], v[22:23], 2.0, -v[40:41]
	v_add_f64_e64 v[22:23], v[18:19], -v[32:33]
	v_add_f64_e64 v[32:33], v[28:29], -v[8:9]
	v_fma_f64 v[0:1], v[20:21], 2.0, -v[42:43]
	scratch_load_b32 v20, off, off offset:580 th:TH_LOAD_LU ; 4-byte Folded Reload
	v_add_f64_e64 v[2:3], v[6:7], -v[2:3]
	v_add_f64_e64 v[0:1], v[4:5], -v[0:1]
	s_delay_alu instid0(VALU_DEP_2) | instskip(NEXT) | instid1(VALU_DEP_2)
	v_fma_f64 v[6:7], v[6:7], 2.0, -v[2:3]
	v_fma_f64 v[4:5], v[4:5], 2.0, -v[0:1]
	s_wait_loadcnt 0x0
	ds_store_b128 v20, v[4:7]
	v_add_f64_e32 v[4:5], v[10:11], v[40:41]
	v_add_f64_e64 v[6:7], v[12:13], -v[42:43]
	s_delay_alu instid0(VALU_DEP_2) | instskip(NEXT) | instid1(VALU_DEP_2)
	v_fma_f64 v[10:11], v[10:11], 2.0, -v[4:5]
	v_fma_f64 v[12:13], v[12:13], 2.0, -v[6:7]
	ds_store_b128 v20, v[10:13] offset:6400
	ds_store_b128 v20, v[0:3] offset:12800
	;; [unrolled: 1-line block ×3, first 2 shown]
	v_add_f64_e64 v[12:13], v[56:57], -v[26:27]
	v_add_f64_e64 v[20:21], v[58:59], -v[30:31]
	;; [unrolled: 1-line block ×3, first 2 shown]
	v_fma_f64 v[0:1], v[18:19], 2.0, -v[22:23]
	v_add_f64_e64 v[18:19], v[64:65], -v[36:37]
	v_add_f64_e64 v[30:31], v[66:67], -v[16:17]
	;; [unrolled: 1-line block ×3, first 2 shown]
	v_fma_f64 v[4:5], v[56:57], 2.0, -v[12:13]
	v_fma_f64 v[6:7], v[58:59], 2.0, -v[20:21]
	;; [unrolled: 1-line block ×5, first 2 shown]
	v_add_f64_e64 v[0:1], v[4:5], -v[0:1]
	s_delay_alu instid0(VALU_DEP_4) | instskip(NEXT) | instid1(VALU_DEP_2)
	v_add_f64_e64 v[2:3], v[6:7], -v[2:3]
	v_fma_f64 v[4:5], v[4:5], 2.0, -v[0:1]
	s_delay_alu instid0(VALU_DEP_2) | instskip(SKIP_3) | instid1(VALU_DEP_2)
	v_fma_f64 v[6:7], v[6:7], 2.0, -v[2:3]
	ds_store_b128 v78, v[4:7] offset:26880
	v_fma_f64 v[4:5], v[24:25], 2.0, -v[16:17]
	v_fma_f64 v[6:7], v[28:29], 2.0, -v[32:33]
	v_add_f64_e64 v[4:5], v[10:11], -v[4:5]
	s_delay_alu instid0(VALU_DEP_2) | instskip(NEXT) | instid1(VALU_DEP_2)
	v_add_f64_e64 v[6:7], v[14:15], -v[6:7]
	v_fma_f64 v[8:9], v[10:11], 2.0, -v[4:5]
	s_delay_alu instid0(VALU_DEP_2) | instskip(SKIP_3) | instid1(VALU_DEP_2)
	v_fma_f64 v[10:11], v[14:15], 2.0, -v[6:7]
	ds_store_b128 v78, v[8:11] offset:29440
	v_add_f64_e32 v[8:9], v[12:13], v[26:27]
	v_add_f64_e64 v[10:11], v[20:21], -v[22:23]
	v_fma_f64 v[12:13], v[12:13], 2.0, -v[8:9]
	s_delay_alu instid0(VALU_DEP_2) | instskip(SKIP_3) | instid1(VALU_DEP_2)
	v_fma_f64 v[14:15], v[20:21], 2.0, -v[10:11]
	ds_store_b128 v78, v[12:15] offset:33280
	v_add_f64_e32 v[12:13], v[18:19], v[32:33]
	v_add_f64_e64 v[14:15], v[30:31], -v[16:17]
	v_fma_f64 v[16:17], v[18:19], 2.0, -v[12:13]
	s_delay_alu instid0(VALU_DEP_2)
	v_fma_f64 v[18:19], v[30:31], 2.0, -v[14:15]
	ds_store_b128 v78, v[16:19] offset:35840
	ds_store_b128 v78, v[0:3] offset:39680
	;; [unrolled: 1-line block ×5, first 2 shown]
	global_wb scope:SCOPE_SE
	s_wait_dscnt 0x0
	s_barrier_signal -1
	s_barrier_wait -1
	global_inv scope:SCOPE_SE
	s_clause 0x1
	scratch_load_b128 v[6:9], off, off offset:648 th:TH_LOAD_LU
	scratch_load_b128 v[14:17], off, off offset:600 th:TH_LOAD_LU
	ds_load_b128 v[0:3], v78 offset:25600
	ds_load_b128 v[64:67], v78 offset:23040
	;; [unrolled: 1-line block ×3, first 2 shown]
	ds_load_b128 v[72:75], v78
	ds_load_b128 v[32:35], v78 offset:12800
	ds_load_b128 v[40:43], v78 offset:15360
	;; [unrolled: 1-line block ×4, first 2 shown]
	s_wait_loadcnt_dscnt 0x107
	v_mul_f64_e32 v[4:5], v[8:9], v[2:3]
	s_delay_alu instid0(VALU_DEP_1) | instskip(SKIP_2) | instid1(VALU_DEP_2)
	v_fma_f64 v[76:77], v[6:7], v[0:1], v[4:5]
	v_mul_f64_e32 v[0:1], v[8:9], v[0:1]
	s_wait_dscnt 0x4
	v_add_f64_e64 v[79:80], v[72:73], -v[76:77]
	s_delay_alu instid0(VALU_DEP_2) | instskip(SKIP_4) | instid1(VALU_DEP_1)
	v_fma_f64 v[81:82], v[6:7], v[2:3], -v[0:1]
	scratch_load_b128 v[6:9], off, off offset:584 th:TH_LOAD_LU ; 16-byte Folded Reload
	ds_load_b128 v[0:3], v78 offset:28160
	v_fma_f64 v[72:73], v[72:73], 2.0, -v[79:80]
	v_add_f64_e64 v[81:82], v[74:75], -v[81:82]
	v_fma_f64 v[74:75], v[74:75], 2.0, -v[81:82]
	s_wait_loadcnt_dscnt 0x0
	v_mul_f64_e32 v[4:5], v[8:9], v[2:3]
	s_delay_alu instid0(VALU_DEP_1) | instskip(SKIP_1) | instid1(VALU_DEP_1)
	v_fma_f64 v[4:5], v[6:7], v[0:1], v[4:5]
	v_mul_f64_e32 v[0:1], v[8:9], v[0:1]
	v_fma_f64 v[6:7], v[6:7], v[2:3], -v[0:1]
	ds_load_b128 v[0:3], v78 offset:30720
	s_wait_dscnt 0x0
	v_mul_f64_e32 v[8:9], v[16:17], v[2:3]
	s_delay_alu instid0(VALU_DEP_1)
	v_fma_f64 v[12:13], v[14:15], v[0:1], v[8:9]
	v_mul_f64_e32 v[0:1], v[16:17], v[0:1]
	scratch_load_b128 v[16:19], off, off offset:616 th:TH_LOAD_LU ; 16-byte Folded Reload
	v_fma_f64 v[14:15], v[14:15], v[2:3], -v[0:1]
	ds_load_b128 v[0:3], v78 offset:33280
	s_wait_loadcnt_dscnt 0x0
	v_mul_f64_e32 v[8:9], v[18:19], v[2:3]
	s_delay_alu instid0(VALU_DEP_1) | instskip(SKIP_1) | instid1(VALU_DEP_1)
	v_fma_f64 v[20:21], v[16:17], v[0:1], v[8:9]
	v_mul_f64_e32 v[0:1], v[18:19], v[0:1]
	v_fma_f64 v[22:23], v[16:17], v[2:3], -v[0:1]
	scratch_load_b128 v[16:19], off, off offset:632 th:TH_LOAD_LU ; 16-byte Folded Reload
	ds_load_b128 v[0:3], v78 offset:35840
	s_wait_loadcnt_dscnt 0x0
	v_mul_f64_e32 v[8:9], v[18:19], v[2:3]
	s_delay_alu instid0(VALU_DEP_1) | instskip(SKIP_1) | instid1(VALU_DEP_2)
	v_fma_f64 v[28:29], v[16:17], v[0:1], v[8:9]
	v_mul_f64_e32 v[0:1], v[18:19], v[0:1]
	v_add_f64_e64 v[28:29], v[24:25], -v[28:29]
	s_delay_alu instid0(VALU_DEP_2)
	v_fma_f64 v[30:31], v[16:17], v[2:3], -v[0:1]
	ds_load_b128 v[0:3], v78 offset:38400
	ds_load_b128 v[16:19], v78 offset:7680
	s_wait_dscnt 0x1
	v_mul_f64_e32 v[8:9], v[170:171], v[2:3]
	s_wait_dscnt 0x0
	v_add_f64_e64 v[20:21], v[16:17], -v[20:21]
	v_add_f64_e64 v[22:23], v[18:19], -v[22:23]
	v_fma_f64 v[24:25], v[24:25], 2.0, -v[28:29]
	v_add_f64_e64 v[30:31], v[26:27], -v[30:31]
	v_fma_f64 v[36:37], v[168:169], v[0:1], v[8:9]
	v_mul_f64_e32 v[0:1], v[170:171], v[0:1]
	v_fma_f64 v[16:17], v[16:17], 2.0, -v[20:21]
	v_fma_f64 v[18:19], v[18:19], 2.0, -v[22:23]
	;; [unrolled: 1-line block ×3, first 2 shown]
	v_add_f64_e64 v[36:37], v[32:33], -v[36:37]
	v_fma_f64 v[38:39], v[168:169], v[2:3], -v[0:1]
	ds_load_b128 v[0:3], v78 offset:40960
	s_wait_dscnt 0x0
	v_mul_f64_e32 v[8:9], v[166:167], v[2:3]
	v_fma_f64 v[32:33], v[32:33], 2.0, -v[36:37]
	v_add_f64_e64 v[38:39], v[34:35], -v[38:39]
	s_delay_alu instid0(VALU_DEP_3) | instskip(SKIP_1) | instid1(VALU_DEP_3)
	v_fma_f64 v[44:45], v[164:165], v[0:1], v[8:9]
	v_mul_f64_e32 v[0:1], v[166:167], v[0:1]
	v_fma_f64 v[34:35], v[34:35], 2.0, -v[38:39]
	s_delay_alu instid0(VALU_DEP_3) | instskip(NEXT) | instid1(VALU_DEP_3)
	v_add_f64_e64 v[44:45], v[40:41], -v[44:45]
	v_fma_f64 v[46:47], v[164:165], v[2:3], -v[0:1]
	ds_load_b128 v[0:3], v78 offset:43520
	s_wait_dscnt 0x0
	v_mul_f64_e32 v[8:9], v[162:163], v[2:3]
	v_fma_f64 v[40:41], v[40:41], 2.0, -v[44:45]
	v_add_f64_e64 v[46:47], v[42:43], -v[46:47]
	s_delay_alu instid0(VALU_DEP_3) | instskip(SKIP_1) | instid1(VALU_DEP_3)
	v_fma_f64 v[52:53], v[160:161], v[0:1], v[8:9]
	v_mul_f64_e32 v[0:1], v[162:163], v[0:1]
	v_fma_f64 v[42:43], v[42:43], 2.0, -v[46:47]
	s_delay_alu instid0(VALU_DEP_3) | instskip(NEXT) | instid1(VALU_DEP_3)
	;; [unrolled: 12-line block ×3, first 2 shown]
	v_add_f64_e64 v[60:61], v[56:57], -v[60:61]
	v_fma_f64 v[62:63], v[156:157], v[2:3], -v[0:1]
	ds_load_b128 v[0:3], v78 offset:48640
	s_wait_dscnt 0x0
	v_mul_f64_e32 v[8:9], v[154:155], v[2:3]
	v_fma_f64 v[56:57], v[56:57], 2.0, -v[60:61]
	v_add_f64_e64 v[62:63], v[58:59], -v[62:63]
	s_delay_alu instid0(VALU_DEP_3)
	v_fma_f64 v[68:69], v[152:153], v[0:1], v[8:9]
	v_mul_f64_e32 v[0:1], v[154:155], v[0:1]
	ds_load_b128 v[8:11], v78 offset:5120
	v_fma_f64 v[58:59], v[58:59], 2.0, -v[62:63]
	s_wait_dscnt 0x0
	v_add_f64_e64 v[12:13], v[8:9], -v[12:13]
	v_add_f64_e64 v[14:15], v[10:11], -v[14:15]
	;; [unrolled: 1-line block ×3, first 2 shown]
	v_fma_f64 v[70:71], v[152:153], v[2:3], -v[0:1]
	ds_load_b128 v[0:3], v78 offset:2560
	s_wait_dscnt 0x0
	v_add_f64_e64 v[4:5], v[0:1], -v[4:5]
	v_add_f64_e64 v[6:7], v[2:3], -v[6:7]
	v_fma_f64 v[8:9], v[8:9], 2.0, -v[12:13]
	v_fma_f64 v[10:11], v[10:11], 2.0, -v[14:15]
	;; [unrolled: 1-line block ×3, first 2 shown]
	v_add_f64_e64 v[70:71], v[66:67], -v[70:71]
	v_fma_f64 v[0:1], v[0:1], 2.0, -v[4:5]
	v_fma_f64 v[2:3], v[2:3], 2.0, -v[6:7]
	s_delay_alu instid0(VALU_DEP_3)
	v_fma_f64 v[66:67], v[66:67], 2.0, -v[70:71]
	ds_store_b128 v78, v[4:7] offset:28160
	ds_store_b128 v78, v[12:15] offset:30720
	;; [unrolled: 1-line block ×19, first 2 shown]
	ds_store_b128 v78, v[72:75]
	global_wb scope:SCOPE_SE
	s_wait_dscnt 0x0
	s_barrier_signal -1
	s_barrier_wait -1
	global_inv scope:SCOPE_SE
	s_clause 0x7
	scratch_load_b128 v[6:9], off, off offset:144 th:TH_LOAD_LU
	scratch_load_b128 v[54:57], off, off offset:160 th:TH_LOAD_LU
	;; [unrolled: 1-line block ×8, first 2 shown]
	ds_load_b128 v[0:3], v78
	s_clause 0xb
	scratch_load_b128 v[22:25], off, off offset:32 th:TH_LOAD_LU
	scratch_load_b128 v[38:41], off, off offset:16 th:TH_LOAD_LU
	;; [unrolled: 1-line block ×12, first 2 shown]
	s_wait_loadcnt_dscnt 0x1300
	v_mul_f64_e32 v[4:5], v[8:9], v[2:3]
	s_delay_alu instid0(VALU_DEP_1) | instskip(SKIP_1) | instid1(VALU_DEP_1)
	v_fma_f64 v[4:5], v[6:7], v[0:1], v[4:5]
	v_mul_f64_e32 v[0:1], v[8:9], v[0:1]
	v_fma_f64 v[6:7], v[6:7], v[2:3], -v[0:1]
	ds_load_b128 v[0:3], v78 offset:5120
	s_wait_loadcnt_dscnt 0x1100
	v_mul_f64_e32 v[8:9], v[12:13], v[2:3]
	s_delay_alu instid0(VALU_DEP_1) | instskip(SKIP_1) | instid1(VALU_DEP_1)
	v_fma_f64 v[8:9], v[10:11], v[0:1], v[8:9]
	v_mul_f64_e32 v[0:1], v[12:13], v[0:1]
	v_fma_f64 v[10:11], v[10:11], v[2:3], -v[0:1]
	ds_load_b128 v[0:3], v78 offset:10240
	s_wait_loadcnt_dscnt 0xf00
	v_mul_f64_e32 v[12:13], v[16:17], v[2:3]
	s_delay_alu instid0(VALU_DEP_1) | instskip(SKIP_1) | instid1(VALU_DEP_1)
	v_fma_f64 v[12:13], v[14:15], v[0:1], v[12:13]
	v_mul_f64_e32 v[0:1], v[16:17], v[0:1]
	v_fma_f64 v[14:15], v[14:15], v[2:3], -v[0:1]
	ds_load_b128 v[0:3], v78 offset:15360
	s_wait_loadcnt_dscnt 0xd00
	v_mul_f64_e32 v[16:17], v[20:21], v[2:3]
	s_delay_alu instid0(VALU_DEP_1) | instskip(SKIP_1) | instid1(VALU_DEP_1)
	v_fma_f64 v[16:17], v[18:19], v[0:1], v[16:17]
	v_mul_f64_e32 v[0:1], v[20:21], v[0:1]
	v_fma_f64 v[18:19], v[18:19], v[2:3], -v[0:1]
	ds_load_b128 v[0:3], v78 offset:20480
	s_wait_loadcnt_dscnt 0xb00
	v_mul_f64_e32 v[20:21], v[24:25], v[2:3]
	s_delay_alu instid0(VALU_DEP_1) | instskip(SKIP_1) | instid1(VALU_DEP_1)
	v_fma_f64 v[20:21], v[22:23], v[0:1], v[20:21]
	v_mul_f64_e32 v[0:1], v[24:25], v[0:1]
	v_fma_f64 v[22:23], v[22:23], v[2:3], -v[0:1]
	ds_load_b128 v[0:3], v78 offset:25600
	s_wait_loadcnt_dscnt 0x900
	v_mul_f64_e32 v[24:25], v[28:29], v[2:3]
	s_delay_alu instid0(VALU_DEP_1) | instskip(SKIP_1) | instid1(VALU_DEP_1)
	v_fma_f64 v[24:25], v[26:27], v[0:1], v[24:25]
	v_mul_f64_e32 v[0:1], v[28:29], v[0:1]
	v_fma_f64 v[26:27], v[26:27], v[2:3], -v[0:1]
	ds_load_b128 v[0:3], v78 offset:30720
	s_wait_loadcnt_dscnt 0x800
	v_mul_f64_e32 v[28:29], v[32:33], v[2:3]
	s_delay_alu instid0(VALU_DEP_1) | instskip(SKIP_1) | instid1(VALU_DEP_1)
	v_fma_f64 v[28:29], v[30:31], v[0:1], v[28:29]
	v_mul_f64_e32 v[0:1], v[32:33], v[0:1]
	v_fma_f64 v[30:31], v[30:31], v[2:3], -v[0:1]
	ds_load_b128 v[0:3], v78 offset:35840
	s_wait_loadcnt_dscnt 0x700
	v_mul_f64_e32 v[32:33], v[36:37], v[2:3]
	s_delay_alu instid0(VALU_DEP_1) | instskip(SKIP_1) | instid1(VALU_DEP_1)
	v_fma_f64 v[32:33], v[34:35], v[0:1], v[32:33]
	v_mul_f64_e32 v[0:1], v[36:37], v[0:1]
	v_fma_f64 v[34:35], v[34:35], v[2:3], -v[0:1]
	ds_load_b128 v[0:3], v78 offset:40960
	s_wait_dscnt 0x0
	v_mul_f64_e32 v[36:37], v[40:41], v[2:3]
	s_delay_alu instid0(VALU_DEP_1) | instskip(SKIP_1) | instid1(VALU_DEP_1)
	v_fma_f64 v[36:37], v[38:39], v[0:1], v[36:37]
	v_mul_f64_e32 v[0:1], v[40:41], v[0:1]
	v_fma_f64 v[38:39], v[38:39], v[2:3], -v[0:1]
	ds_load_b128 v[0:3], v78 offset:46080
	s_wait_loadcnt_dscnt 0x600
	v_mul_f64_e32 v[40:41], v[44:45], v[2:3]
	s_delay_alu instid0(VALU_DEP_1) | instskip(SKIP_1) | instid1(VALU_DEP_1)
	v_fma_f64 v[40:41], v[42:43], v[0:1], v[40:41]
	v_mul_f64_e32 v[0:1], v[44:45], v[0:1]
	v_fma_f64 v[42:43], v[42:43], v[2:3], -v[0:1]
	ds_load_b128 v[0:3], v78 offset:2560
	s_wait_loadcnt_dscnt 0x500
	;; [unrolled: 7-line block ×3, first 2 shown]
	v_mul_f64_e32 v[48:49], v[52:53], v[2:3]
	s_delay_alu instid0(VALU_DEP_1) | instskip(SKIP_1) | instid1(VALU_DEP_1)
	v_fma_f64 v[48:49], v[50:51], v[0:1], v[48:49]
	v_mul_f64_e32 v[0:1], v[52:53], v[0:1]
	v_fma_f64 v[50:51], v[50:51], v[2:3], -v[0:1]
	ds_load_b128 v[0:3], v78 offset:12800
	s_wait_dscnt 0x0
	v_mul_f64_e32 v[52:53], v[56:57], v[2:3]
	s_delay_alu instid0(VALU_DEP_1) | instskip(SKIP_1) | instid1(VALU_DEP_1)
	v_fma_f64 v[52:53], v[54:55], v[0:1], v[52:53]
	v_mul_f64_e32 v[0:1], v[56:57], v[0:1]
	v_fma_f64 v[54:55], v[54:55], v[2:3], -v[0:1]
	ds_load_b128 v[0:3], v78 offset:17920
	s_wait_dscnt 0x0
	;; [unrolled: 7-line block ×4, first 2 shown]
	v_mul_f64_e32 v[64:65], v[68:69], v[2:3]
	s_delay_alu instid0(VALU_DEP_1) | instskip(SKIP_1) | instid1(VALU_DEP_1)
	v_fma_f64 v[64:65], v[66:67], v[0:1], v[64:65]
	v_mul_f64_e32 v[0:1], v[68:69], v[0:1]
	v_fma_f64 v[66:67], v[66:67], v[2:3], -v[0:1]
	ds_load_b128 v[0:3], v78 offset:33280
	s_wait_loadcnt_dscnt 0x300
	v_mul_f64_e32 v[68:69], v[72:73], v[2:3]
	s_delay_alu instid0(VALU_DEP_1) | instskip(SKIP_1) | instid1(VALU_DEP_1)
	v_fma_f64 v[68:69], v[70:71], v[0:1], v[68:69]
	v_mul_f64_e32 v[0:1], v[72:73], v[0:1]
	v_fma_f64 v[70:71], v[70:71], v[2:3], -v[0:1]
	ds_load_b128 v[0:3], v78 offset:38400
	s_wait_loadcnt_dscnt 0x200
	v_mul_f64_e32 v[72:73], v[76:77], v[2:3]
	s_delay_alu instid0(VALU_DEP_1) | instskip(SKIP_1) | instid1(VALU_DEP_1)
	v_fma_f64 v[72:73], v[74:75], v[0:1], v[72:73]
	v_mul_f64_e32 v[0:1], v[76:77], v[0:1]
	v_fma_f64 v[74:75], v[74:75], v[2:3], -v[0:1]
	ds_load_b128 v[0:3], v78 offset:43520
	s_wait_loadcnt_dscnt 0x100
	v_mul_f64_e32 v[76:77], v[81:82], v[2:3]
	s_delay_alu instid0(VALU_DEP_1) | instskip(SKIP_1) | instid1(VALU_DEP_1)
	v_fma_f64 v[76:77], v[79:80], v[0:1], v[76:77]
	v_mul_f64_e32 v[0:1], v[81:82], v[0:1]
	v_fma_f64 v[79:80], v[79:80], v[2:3], -v[0:1]
	ds_load_b128 v[0:3], v78 offset:48640
	s_wait_loadcnt_dscnt 0x0
	v_mul_f64_e32 v[81:82], v[85:86], v[2:3]
	s_delay_alu instid0(VALU_DEP_1) | instskip(SKIP_1) | instid1(VALU_DEP_1)
	v_fma_f64 v[81:82], v[83:84], v[0:1], v[81:82]
	v_mul_f64_e32 v[0:1], v[85:86], v[0:1]
	v_fma_f64 v[83:84], v[83:84], v[2:3], -v[0:1]
	scratch_load_b64 v[1:2], off, off th:TH_LOAD_LU ; 8-byte Folded Reload
	s_wait_loadcnt 0x0
	s_wait_alu 0xfffe
	v_mul_f64_e32 v[2:3], s[2:3], v[6:7]
	scratch_load_b32 v6, off, off offset:336 th:TH_LOAD_LU ; 4-byte Folded Reload
	v_mad_co_u64_u32 v[85:86], null, s6, v1, 0
	s_delay_alu instid0(VALU_DEP_1) | instskip(NEXT) | instid1(VALU_DEP_1)
	v_mov_b32_e32 v0, v86
	v_mad_co_u64_u32 v[0:1], null, s7, v1, v[0:1]
	s_mul_u64 s[6:7], s[4:5], 0x1400
	s_delay_alu instid0(VALU_DEP_1) | instskip(SKIP_3) | instid1(VALU_DEP_1)
	v_mov_b32_e32 v86, v0
	v_mul_f64_e32 v[0:1], s[2:3], v[4:5]
	s_wait_loadcnt 0x0
	v_mad_co_u64_u32 v[4:5], null, s4, v6, 0
	v_mad_co_u64_u32 v[5:6], null, s5, v6, v[5:6]
	v_lshlrev_b64_e32 v[6:7], 4, v[85:86]
	s_delay_alu instid0(VALU_DEP_2) | instskip(NEXT) | instid1(VALU_DEP_2)
	v_lshlrev_b64_e32 v[4:5], 4, v[4:5]
	v_add_co_u32 v78, vcc_lo, s0, v6
	s_wait_alu 0xfffd
	s_delay_alu instid0(VALU_DEP_3) | instskip(SKIP_1) | instid1(VALU_DEP_2)
	v_add_co_ci_u32_e32 v90, vcc_lo, s1, v7, vcc_lo
	s_mul_i32 s0, s5, 0x2800
	v_add_co_u32 v4, vcc_lo, v78, v4
	s_wait_alu 0xfffd
	s_delay_alu instid0(VALU_DEP_2)
	v_add_co_ci_u32_e32 v5, vcc_lo, v90, v5, vcc_lo
	global_store_b128 v[4:5], v[0:3], off
	v_mul_f64_e32 v[0:1], s[2:3], v[8:9]
	scratch_load_b32 v8, off, off offset:12 th:TH_LOAD_LU ; 4-byte Folded Reload
	v_mul_f64_e32 v[2:3], s[2:3], v[10:11]
	scratch_load_b32 v10, off, off offset:8 th:TH_LOAD_LU ; 4-byte Folded Reload
	s_wait_alu 0xfffe
	v_add_co_u32 v4, vcc_lo, v4, s6
	s_wait_alu 0xfffd
	v_add_co_ci_u32_e32 v5, vcc_lo, s7, v5, vcc_lo
	global_store_b128 v[4:5], v[0:3], off
	v_mul_f64_e32 v[0:1], s[2:3], v[12:13]
	v_mul_f64_e32 v[2:3], s[2:3], v[14:15]
	v_add_co_u32 v4, vcc_lo, v4, s6
	s_wait_alu 0xfffd
	v_add_co_ci_u32_e32 v5, vcc_lo, s7, v5, vcc_lo
	v_mul_f64_e32 v[12:13], s[2:3], v[48:49]
	v_mul_f64_e32 v[14:15], s[2:3], v[50:51]
	global_store_b128 v[4:5], v[0:3], off
	v_mul_f64_e32 v[0:1], s[2:3], v[16:17]
	v_mul_f64_e32 v[2:3], s[2:3], v[18:19]
	v_add_co_u32 v4, vcc_lo, v4, s6
	s_wait_alu 0xfffd
	v_add_co_ci_u32_e32 v5, vcc_lo, s7, v5, vcc_lo
	v_mul_f64_e32 v[16:17], s[2:3], v[52:53]
	v_mul_f64_e32 v[18:19], s[2:3], v[54:55]
	global_store_b128 v[4:5], v[0:3], off
	v_mul_f64_e32 v[0:1], s[2:3], v[20:21]
	v_mul_f64_e32 v[2:3], s[2:3], v[22:23]
	;; [unrolled: 1-line block ×4, first 2 shown]
	s_wait_loadcnt 0x1
	v_mad_co_u64_u32 v[6:7], null, s4, v8, 0
	s_delay_alu instid0(VALU_DEP_1) | instskip(SKIP_3) | instid1(VALU_DEP_4)
	v_mad_co_u64_u32 v[7:8], null, s5, v8, v[7:8]
	v_mad_co_u64_u32 v[8:9], null, 0x2800, s4, v[4:5]
	v_mul_f64_e32 v[4:5], s[2:3], v[32:33]
	v_mul_f64_e32 v[32:33], s[2:3], v[68:69]
	v_lshlrev_b64_e32 v[6:7], 4, v[6:7]
	s_delay_alu instid0(VALU_DEP_4) | instskip(NEXT) | instid1(VALU_DEP_2)
	v_add_nc_u32_e32 v9, s0, v9
	v_add_co_u32 v6, vcc_lo, v78, v6
	s_wait_alu 0xfffd
	s_delay_alu instid0(VALU_DEP_3)
	v_add_co_ci_u32_e32 v7, vcc_lo, v90, v7, vcc_lo
	global_store_b128 v[6:7], v[0:3], off
	v_mul_f64_e32 v[0:1], s[2:3], v[24:25]
	v_mul_f64_e32 v[2:3], s[2:3], v[26:27]
	;; [unrolled: 1-line block ×6, first 2 shown]
	global_store_b128 v[8:9], v[0:3], off
	v_mul_f64_e32 v[0:1], s[2:3], v[28:29]
	v_mul_f64_e32 v[2:3], s[2:3], v[30:31]
	v_add_co_u32 v8, vcc_lo, v8, s6
	s_wait_alu 0xfffd
	v_add_co_ci_u32_e32 v9, vcc_lo, s7, v9, vcc_lo
	v_mul_f64_e32 v[28:29], s[2:3], v[64:65]
	v_mul_f64_e32 v[30:31], s[2:3], v[66:67]
	global_store_b128 v[8:9], v[0:3], off
	s_wait_loadcnt 0x0
	v_mad_co_u64_u32 v[0:1], null, s4, v10, 0
	v_add_co_u32 v2, vcc_lo, v8, s6
	s_wait_alu 0xfffd
	v_add_co_ci_u32_e32 v3, vcc_lo, s7, v9, vcc_lo
	v_mul_f64_e32 v[8:9], s[2:3], v[44:45]
	v_mul_f64_e32 v[44:45], s[2:3], v[81:82]
	s_delay_alu instid0(VALU_DEP_3)
	v_mad_co_u64_u32 v[85:86], null, 0x2800, s4, v[2:3]
	global_store_b128 v[2:3], v[4:7], off
	v_mad_co_u64_u32 v[1:2], null, s5, v10, v[1:2]
	v_mul_f64_e32 v[2:3], s[2:3], v[38:39]
	v_mul_f64_e32 v[6:7], s[2:3], v[42:43]
	;; [unrolled: 1-line block ×3, first 2 shown]
	v_add_nc_u32_e32 v86, s0, v86
	s_mul_i32 s0, s5, 0xffff5600
	v_mul_f64_e32 v[38:39], s[2:3], v[74:75]
	v_lshlrev_b64_e32 v[4:5], 4, v[0:1]
	v_mul_f64_e32 v[0:1], s[2:3], v[36:37]
	v_mad_co_u64_u32 v[87:88], null, 0xffff5600, s4, v[85:86]
	s_wait_alu 0xfffe
	s_sub_co_i32 s0, s0, s4
	v_mul_f64_e32 v[36:37], s[2:3], v[72:73]
	v_add_co_u32 v89, vcc_lo, v78, v4
	s_wait_alu 0xfffd
	v_add_co_ci_u32_e32 v90, vcc_lo, v90, v5, vcc_lo
	v_mul_f64_e32 v[4:5], s[2:3], v[40:41]
	s_wait_alu 0xfffe
	v_add_nc_u32_e32 v88, s0, v88
	v_add_co_u32 v91, s0, v87, s6
	v_mul_f64_e32 v[40:41], s[2:3], v[76:77]
	v_mul_f64_e32 v[42:43], s[2:3], v[79:80]
	s_wait_alu 0xf1ff
	v_add_co_ci_u32_e64 v92, s0, s7, v88, s0
	v_add_co_u32 v93, vcc_lo, v91, s6
	v_mul_f64_e32 v[46:47], s[2:3], v[83:84]
	s_wait_alu 0xfffd
	s_delay_alu instid0(VALU_DEP_3) | instskip(NEXT) | instid1(VALU_DEP_3)
	v_add_co_ci_u32_e32 v94, vcc_lo, s7, v92, vcc_lo
	v_add_co_u32 v48, vcc_lo, v93, s6
	s_wait_alu 0xfffd
	s_delay_alu instid0(VALU_DEP_2) | instskip(SKIP_4) | instid1(VALU_DEP_2)
	v_add_co_ci_u32_e32 v49, vcc_lo, s7, v94, vcc_lo
	global_store_b128 v[89:90], v[0:3], off
	v_add_co_u32 v0, vcc_lo, v48, s6
	s_wait_alu 0xfffd
	v_add_co_ci_u32_e32 v1, vcc_lo, s7, v49, vcc_lo
	v_add_co_u32 v2, vcc_lo, v0, s6
	s_wait_alu 0xfffd
	s_delay_alu instid0(VALU_DEP_2) | instskip(SKIP_4) | instid1(VALU_DEP_2)
	v_add_co_ci_u32_e32 v3, vcc_lo, s7, v1, vcc_lo
	global_store_b128 v[85:86], v[4:7], off
	v_add_co_u32 v50, vcc_lo, v2, s6
	s_wait_alu 0xfffd
	v_add_co_ci_u32_e32 v51, vcc_lo, s7, v3, vcc_lo
	v_add_co_u32 v4, vcc_lo, v50, s6
	s_wait_alu 0xfffd
	s_delay_alu instid0(VALU_DEP_2) | instskip(NEXT) | instid1(VALU_DEP_2)
	v_add_co_ci_u32_e32 v5, vcc_lo, s7, v51, vcc_lo
	v_add_co_u32 v6, vcc_lo, v4, s6
	s_wait_alu 0xfffd
	s_delay_alu instid0(VALU_DEP_2) | instskip(NEXT) | instid1(VALU_DEP_2)
	v_add_co_ci_u32_e32 v7, vcc_lo, s7, v5, vcc_lo
	v_add_co_u32 v52, vcc_lo, v6, s6
	s_wait_alu 0xfffd
	s_delay_alu instid0(VALU_DEP_2)
	v_add_co_ci_u32_e32 v53, vcc_lo, s7, v7, vcc_lo
	global_store_b128 v[87:88], v[8:11], off
	global_store_b128 v[91:92], v[12:15], off
	;; [unrolled: 1-line block ×10, first 2 shown]
.LBB0_2:
	s_nop 0
	s_sendmsg sendmsg(MSG_DEALLOC_VGPRS)
	s_endpgm
	.section	.rodata,"a",@progbits
	.p2align	6, 0x0
	.amdhsa_kernel bluestein_single_back_len3200_dim1_dp_op_CI_CI
		.amdhsa_group_segment_fixed_size 51200
		.amdhsa_private_segment_fixed_size 768
		.amdhsa_kernarg_size 104
		.amdhsa_user_sgpr_count 2
		.amdhsa_user_sgpr_dispatch_ptr 0
		.amdhsa_user_sgpr_queue_ptr 0
		.amdhsa_user_sgpr_kernarg_segment_ptr 1
		.amdhsa_user_sgpr_dispatch_id 0
		.amdhsa_user_sgpr_private_segment_size 0
		.amdhsa_wavefront_size32 1
		.amdhsa_uses_dynamic_stack 0
		.amdhsa_enable_private_segment 1
		.amdhsa_system_sgpr_workgroup_id_x 1
		.amdhsa_system_sgpr_workgroup_id_y 0
		.amdhsa_system_sgpr_workgroup_id_z 0
		.amdhsa_system_sgpr_workgroup_info 0
		.amdhsa_system_vgpr_workitem_id 0
		.amdhsa_next_free_vgpr 256
		.amdhsa_next_free_sgpr 27
		.amdhsa_reserve_vcc 1
		.amdhsa_float_round_mode_32 0
		.amdhsa_float_round_mode_16_64 0
		.amdhsa_float_denorm_mode_32 3
		.amdhsa_float_denorm_mode_16_64 3
		.amdhsa_fp16_overflow 0
		.amdhsa_workgroup_processor_mode 1
		.amdhsa_memory_ordered 1
		.amdhsa_forward_progress 0
		.amdhsa_round_robin_scheduling 0
		.amdhsa_exception_fp_ieee_invalid_op 0
		.amdhsa_exception_fp_denorm_src 0
		.amdhsa_exception_fp_ieee_div_zero 0
		.amdhsa_exception_fp_ieee_overflow 0
		.amdhsa_exception_fp_ieee_underflow 0
		.amdhsa_exception_fp_ieee_inexact 0
		.amdhsa_exception_int_div_zero 0
	.end_amdhsa_kernel
	.text
.Lfunc_end0:
	.size	bluestein_single_back_len3200_dim1_dp_op_CI_CI, .Lfunc_end0-bluestein_single_back_len3200_dim1_dp_op_CI_CI
                                        ; -- End function
	.section	.AMDGPU.csdata,"",@progbits
; Kernel info:
; codeLenInByte = 28116
; NumSgprs: 29
; NumVgprs: 256
; ScratchSize: 768
; MemoryBound: 0
; FloatMode: 240
; IeeeMode: 1
; LDSByteSize: 51200 bytes/workgroup (compile time only)
; SGPRBlocks: 3
; VGPRBlocks: 31
; NumSGPRsForWavesPerEU: 29
; NumVGPRsForWavesPerEU: 256
; Occupancy: 3
; WaveLimiterHint : 1
; COMPUTE_PGM_RSRC2:SCRATCH_EN: 1
; COMPUTE_PGM_RSRC2:USER_SGPR: 2
; COMPUTE_PGM_RSRC2:TRAP_HANDLER: 0
; COMPUTE_PGM_RSRC2:TGID_X_EN: 1
; COMPUTE_PGM_RSRC2:TGID_Y_EN: 0
; COMPUTE_PGM_RSRC2:TGID_Z_EN: 0
; COMPUTE_PGM_RSRC2:TIDIG_COMP_CNT: 0
	.text
	.p2alignl 7, 3214868480
	.fill 96, 4, 3214868480
	.type	__hip_cuid_24eb53c14767f0a6,@object ; @__hip_cuid_24eb53c14767f0a6
	.section	.bss,"aw",@nobits
	.globl	__hip_cuid_24eb53c14767f0a6
__hip_cuid_24eb53c14767f0a6:
	.byte	0                               ; 0x0
	.size	__hip_cuid_24eb53c14767f0a6, 1

	.ident	"AMD clang version 19.0.0git (https://github.com/RadeonOpenCompute/llvm-project roc-6.4.0 25133 c7fe45cf4b819c5991fe208aaa96edf142730f1d)"
	.section	".note.GNU-stack","",@progbits
	.addrsig
	.addrsig_sym __hip_cuid_24eb53c14767f0a6
	.amdgpu_metadata
---
amdhsa.kernels:
  - .args:
      - .actual_access:  read_only
        .address_space:  global
        .offset:         0
        .size:           8
        .value_kind:     global_buffer
      - .actual_access:  read_only
        .address_space:  global
        .offset:         8
        .size:           8
        .value_kind:     global_buffer
      - .actual_access:  read_only
        .address_space:  global
        .offset:         16
        .size:           8
        .value_kind:     global_buffer
      - .actual_access:  read_only
        .address_space:  global
        .offset:         24
        .size:           8
        .value_kind:     global_buffer
      - .actual_access:  read_only
        .address_space:  global
        .offset:         32
        .size:           8
        .value_kind:     global_buffer
      - .offset:         40
        .size:           8
        .value_kind:     by_value
      - .address_space:  global
        .offset:         48
        .size:           8
        .value_kind:     global_buffer
      - .address_space:  global
        .offset:         56
        .size:           8
        .value_kind:     global_buffer
      - .address_space:  global
        .offset:         64
        .size:           8
        .value_kind:     global_buffer
      - .address_space:  global
        .offset:         72
        .size:           8
        .value_kind:     global_buffer
      - .offset:         80
        .size:           4
        .value_kind:     by_value
      - .address_space:  global
        .offset:         88
        .size:           8
        .value_kind:     global_buffer
      - .address_space:  global
        .offset:         96
        .size:           8
        .value_kind:     global_buffer
    .group_segment_fixed_size: 51200
    .kernarg_segment_align: 8
    .kernarg_segment_size: 104
    .language:       OpenCL C
    .language_version:
      - 2
      - 0
    .max_flat_workgroup_size: 160
    .name:           bluestein_single_back_len3200_dim1_dp_op_CI_CI
    .private_segment_fixed_size: 768
    .sgpr_count:     29
    .sgpr_spill_count: 0
    .symbol:         bluestein_single_back_len3200_dim1_dp_op_CI_CI.kd
    .uniform_work_group_size: 1
    .uses_dynamic_stack: false
    .vgpr_count:     256
    .vgpr_spill_count: 191
    .wavefront_size: 32
    .workgroup_processor_mode: 1
amdhsa.target:   amdgcn-amd-amdhsa--gfx1201
amdhsa.version:
  - 1
  - 2
...

	.end_amdgpu_metadata
